;; amdgpu-corpus repo=ROCm/rocFFT kind=compiled arch=gfx1030 opt=O3
	.text
	.amdgcn_target "amdgcn-amd-amdhsa--gfx1030"
	.amdhsa_code_object_version 6
	.protected	fft_rtc_back_len1560_factors_13_2_2_10_3_wgs_156_tpt_156_dp_op_CI_CI_unitstride_sbrr_R2C_dirReg ; -- Begin function fft_rtc_back_len1560_factors_13_2_2_10_3_wgs_156_tpt_156_dp_op_CI_CI_unitstride_sbrr_R2C_dirReg
	.globl	fft_rtc_back_len1560_factors_13_2_2_10_3_wgs_156_tpt_156_dp_op_CI_CI_unitstride_sbrr_R2C_dirReg
	.p2align	8
	.type	fft_rtc_back_len1560_factors_13_2_2_10_3_wgs_156_tpt_156_dp_op_CI_CI_unitstride_sbrr_R2C_dirReg,@function
fft_rtc_back_len1560_factors_13_2_2_10_3_wgs_156_tpt_156_dp_op_CI_CI_unitstride_sbrr_R2C_dirReg: ; @fft_rtc_back_len1560_factors_13_2_2_10_3_wgs_156_tpt_156_dp_op_CI_CI_unitstride_sbrr_R2C_dirReg
; %bb.0:
	s_clause 0x2
	s_load_dwordx4 s[12:15], s[4:5], 0x0
	s_load_dwordx4 s[8:11], s[4:5], 0x58
	;; [unrolled: 1-line block ×3, first 2 shown]
	v_mul_u32_u24_e32 v1, 0x1a5, v0
	v_mov_b32_e32 v3, 0
	v_add_nc_u32_sdwa v5, s6, v1 dst_sel:DWORD dst_unused:UNUSED_PAD src0_sel:DWORD src1_sel:WORD_1
	v_mov_b32_e32 v1, 0
	v_mov_b32_e32 v6, v3
	v_mov_b32_e32 v2, 0
	s_waitcnt lgkmcnt(0)
	v_cmp_lt_u64_e64 s0, s[14:15], 2
	s_and_b32 vcc_lo, exec_lo, s0
	s_cbranch_vccnz .LBB0_8
; %bb.1:
	s_load_dwordx2 s[0:1], s[4:5], 0x10
	v_mov_b32_e32 v1, 0
	v_mov_b32_e32 v2, 0
	s_add_u32 s2, s18, 8
	s_addc_u32 s3, s19, 0
	s_add_u32 s6, s16, 8
	s_addc_u32 s7, s17, 0
	v_mov_b32_e32 v61, v2
	v_mov_b32_e32 v60, v1
	s_mov_b64 s[22:23], 1
	s_waitcnt lgkmcnt(0)
	s_add_u32 s20, s0, 8
	s_addc_u32 s21, s1, 0
.LBB0_2:                                ; =>This Inner Loop Header: Depth=1
	s_load_dwordx2 s[24:25], s[20:21], 0x0
                                        ; implicit-def: $vgpr64_vgpr65
	s_mov_b32 s0, exec_lo
	s_waitcnt lgkmcnt(0)
	v_or_b32_e32 v4, s25, v6
	v_cmpx_ne_u64_e32 0, v[3:4]
	s_xor_b32 s1, exec_lo, s0
	s_cbranch_execz .LBB0_4
; %bb.3:                                ;   in Loop: Header=BB0_2 Depth=1
	v_cvt_f32_u32_e32 v4, s24
	v_cvt_f32_u32_e32 v7, s25
	s_sub_u32 s0, 0, s24
	s_subb_u32 s26, 0, s25
	v_fmac_f32_e32 v4, 0x4f800000, v7
	v_rcp_f32_e32 v4, v4
	v_mul_f32_e32 v4, 0x5f7ffffc, v4
	v_mul_f32_e32 v7, 0x2f800000, v4
	v_trunc_f32_e32 v7, v7
	v_fmac_f32_e32 v4, 0xcf800000, v7
	v_cvt_u32_f32_e32 v7, v7
	v_cvt_u32_f32_e32 v4, v4
	v_mul_lo_u32 v8, s0, v7
	v_mul_hi_u32 v9, s0, v4
	v_mul_lo_u32 v10, s26, v4
	v_add_nc_u32_e32 v8, v9, v8
	v_mul_lo_u32 v9, s0, v4
	v_add_nc_u32_e32 v8, v8, v10
	v_mul_hi_u32 v10, v4, v9
	v_mul_lo_u32 v11, v4, v8
	v_mul_hi_u32 v12, v4, v8
	v_mul_hi_u32 v13, v7, v9
	v_mul_lo_u32 v9, v7, v9
	v_mul_hi_u32 v14, v7, v8
	v_mul_lo_u32 v8, v7, v8
	v_add_co_u32 v10, vcc_lo, v10, v11
	v_add_co_ci_u32_e32 v11, vcc_lo, 0, v12, vcc_lo
	v_add_co_u32 v9, vcc_lo, v10, v9
	v_add_co_ci_u32_e32 v9, vcc_lo, v11, v13, vcc_lo
	v_add_co_ci_u32_e32 v10, vcc_lo, 0, v14, vcc_lo
	v_add_co_u32 v8, vcc_lo, v9, v8
	v_add_co_ci_u32_e32 v9, vcc_lo, 0, v10, vcc_lo
	v_add_co_u32 v4, vcc_lo, v4, v8
	v_add_co_ci_u32_e32 v7, vcc_lo, v7, v9, vcc_lo
	v_mul_hi_u32 v8, s0, v4
	v_mul_lo_u32 v10, s26, v4
	v_mul_lo_u32 v9, s0, v7
	v_add_nc_u32_e32 v8, v8, v9
	v_mul_lo_u32 v9, s0, v4
	v_add_nc_u32_e32 v8, v8, v10
	v_mul_hi_u32 v10, v4, v9
	v_mul_lo_u32 v11, v4, v8
	v_mul_hi_u32 v12, v4, v8
	v_mul_hi_u32 v13, v7, v9
	v_mul_lo_u32 v9, v7, v9
	v_mul_hi_u32 v14, v7, v8
	v_mul_lo_u32 v8, v7, v8
	v_add_co_u32 v10, vcc_lo, v10, v11
	v_add_co_ci_u32_e32 v11, vcc_lo, 0, v12, vcc_lo
	v_add_co_u32 v9, vcc_lo, v10, v9
	v_add_co_ci_u32_e32 v9, vcc_lo, v11, v13, vcc_lo
	v_add_co_ci_u32_e32 v10, vcc_lo, 0, v14, vcc_lo
	v_add_co_u32 v8, vcc_lo, v9, v8
	v_add_co_ci_u32_e32 v9, vcc_lo, 0, v10, vcc_lo
	v_add_co_u32 v4, vcc_lo, v4, v8
	v_add_co_ci_u32_e32 v11, vcc_lo, v7, v9, vcc_lo
	v_mul_hi_u32 v13, v5, v4
	v_mad_u64_u32 v[9:10], null, v6, v4, 0
	v_mad_u64_u32 v[7:8], null, v5, v11, 0
	;; [unrolled: 1-line block ×3, first 2 shown]
	v_add_co_u32 v4, vcc_lo, v13, v7
	v_add_co_ci_u32_e32 v7, vcc_lo, 0, v8, vcc_lo
	v_add_co_u32 v4, vcc_lo, v4, v9
	v_add_co_ci_u32_e32 v4, vcc_lo, v7, v10, vcc_lo
	v_add_co_ci_u32_e32 v7, vcc_lo, 0, v12, vcc_lo
	v_add_co_u32 v4, vcc_lo, v4, v11
	v_add_co_ci_u32_e32 v9, vcc_lo, 0, v7, vcc_lo
	v_mul_lo_u32 v10, s25, v4
	v_mad_u64_u32 v[7:8], null, s24, v4, 0
	v_mul_lo_u32 v11, s24, v9
	v_sub_co_u32 v7, vcc_lo, v5, v7
	v_add3_u32 v8, v8, v11, v10
	v_sub_nc_u32_e32 v10, v6, v8
	v_subrev_co_ci_u32_e64 v10, s0, s25, v10, vcc_lo
	v_add_co_u32 v11, s0, v4, 2
	v_add_co_ci_u32_e64 v12, s0, 0, v9, s0
	v_sub_co_u32 v13, s0, v7, s24
	v_sub_co_ci_u32_e32 v8, vcc_lo, v6, v8, vcc_lo
	v_subrev_co_ci_u32_e64 v10, s0, 0, v10, s0
	v_cmp_le_u32_e32 vcc_lo, s24, v13
	v_cmp_eq_u32_e64 s0, s25, v8
	v_cndmask_b32_e64 v13, 0, -1, vcc_lo
	v_cmp_le_u32_e32 vcc_lo, s25, v10
	v_cndmask_b32_e64 v14, 0, -1, vcc_lo
	v_cmp_le_u32_e32 vcc_lo, s24, v7
	;; [unrolled: 2-line block ×3, first 2 shown]
	v_cndmask_b32_e64 v15, 0, -1, vcc_lo
	v_cmp_eq_u32_e32 vcc_lo, s25, v10
	v_cndmask_b32_e64 v7, v15, v7, s0
	v_cndmask_b32_e32 v10, v14, v13, vcc_lo
	v_add_co_u32 v13, vcc_lo, v4, 1
	v_add_co_ci_u32_e32 v14, vcc_lo, 0, v9, vcc_lo
	v_cmp_ne_u32_e32 vcc_lo, 0, v10
	v_cndmask_b32_e32 v8, v14, v12, vcc_lo
	v_cndmask_b32_e32 v10, v13, v11, vcc_lo
	v_cmp_ne_u32_e32 vcc_lo, 0, v7
	v_cndmask_b32_e32 v65, v9, v8, vcc_lo
	v_cndmask_b32_e32 v64, v4, v10, vcc_lo
.LBB0_4:                                ;   in Loop: Header=BB0_2 Depth=1
	s_andn2_saveexec_b32 s0, s1
	s_cbranch_execz .LBB0_6
; %bb.5:                                ;   in Loop: Header=BB0_2 Depth=1
	v_cvt_f32_u32_e32 v4, s24
	s_sub_i32 s1, 0, s24
	v_mov_b32_e32 v65, v3
	v_rcp_iflag_f32_e32 v4, v4
	v_mul_f32_e32 v4, 0x4f7ffffe, v4
	v_cvt_u32_f32_e32 v4, v4
	v_mul_lo_u32 v7, s1, v4
	v_mul_hi_u32 v7, v4, v7
	v_add_nc_u32_e32 v4, v4, v7
	v_mul_hi_u32 v4, v5, v4
	v_mul_lo_u32 v7, v4, s24
	v_add_nc_u32_e32 v8, 1, v4
	v_sub_nc_u32_e32 v7, v5, v7
	v_subrev_nc_u32_e32 v9, s24, v7
	v_cmp_le_u32_e32 vcc_lo, s24, v7
	v_cndmask_b32_e32 v7, v7, v9, vcc_lo
	v_cndmask_b32_e32 v4, v4, v8, vcc_lo
	v_cmp_le_u32_e32 vcc_lo, s24, v7
	v_add_nc_u32_e32 v8, 1, v4
	v_cndmask_b32_e32 v64, v4, v8, vcc_lo
.LBB0_6:                                ;   in Loop: Header=BB0_2 Depth=1
	s_or_b32 exec_lo, exec_lo, s0
	v_mul_lo_u32 v4, v65, s24
	v_mul_lo_u32 v9, v64, s25
	s_load_dwordx2 s[0:1], s[6:7], 0x0
	v_mad_u64_u32 v[7:8], null, v64, s24, 0
	s_load_dwordx2 s[24:25], s[2:3], 0x0
	s_add_u32 s22, s22, 1
	s_addc_u32 s23, s23, 0
	s_add_u32 s2, s2, 8
	s_addc_u32 s3, s3, 0
	s_add_u32 s6, s6, 8
	v_add3_u32 v4, v8, v9, v4
	v_sub_co_u32 v5, vcc_lo, v5, v7
	s_addc_u32 s7, s7, 0
	s_add_u32 s20, s20, 8
	v_sub_co_ci_u32_e32 v4, vcc_lo, v6, v4, vcc_lo
	s_addc_u32 s21, s21, 0
	s_waitcnt lgkmcnt(0)
	v_mul_lo_u32 v6, s0, v4
	v_mul_lo_u32 v7, s1, v5
	v_mad_u64_u32 v[1:2], null, s0, v5, v[1:2]
	v_mul_lo_u32 v4, s24, v4
	v_mul_lo_u32 v8, s25, v5
	v_mad_u64_u32 v[60:61], null, s24, v5, v[60:61]
	v_cmp_ge_u64_e64 s0, s[22:23], s[14:15]
	v_add3_u32 v2, v7, v2, v6
	v_add3_u32 v61, v8, v61, v4
	s_and_b32 vcc_lo, exec_lo, s0
	s_cbranch_vccnz .LBB0_9
; %bb.7:                                ;   in Loop: Header=BB0_2 Depth=1
	v_mov_b32_e32 v5, v64
	v_mov_b32_e32 v6, v65
	s_branch .LBB0_2
.LBB0_8:
	v_mov_b32_e32 v61, v2
	v_mov_b32_e32 v65, v6
	;; [unrolled: 1-line block ×4, first 2 shown]
.LBB0_9:
	s_load_dwordx2 s[0:1], s[4:5], 0x28
	v_mul_hi_u32 v3, 0x1a41a42, v0
	s_lshl_b64 s[4:5], s[14:15], 3
                                        ; implicit-def: $vgpr62
	s_add_u32 s2, s18, s4
	s_addc_u32 s3, s19, s5
	s_waitcnt lgkmcnt(0)
	v_cmp_gt_u64_e32 vcc_lo, s[0:1], v[64:65]
	v_cmp_le_u64_e64 s0, s[0:1], v[64:65]
	s_and_saveexec_b32 s1, s0
	s_xor_b32 s0, exec_lo, s1
; %bb.10:
	v_mul_u32_u24_e32 v1, 0x9c, v3
                                        ; implicit-def: $vgpr3
	v_sub_nc_u32_e32 v62, v0, v1
                                        ; implicit-def: $vgpr0
                                        ; implicit-def: $vgpr1_vgpr2
; %bb.11:
	s_andn2_saveexec_b32 s1, s0
	s_cbranch_execz .LBB0_13
; %bb.12:
	s_add_u32 s4, s16, s4
	s_addc_u32 s5, s17, s5
	v_lshlrev_b64 v[1:2], 4, v[1:2]
	s_load_dwordx2 s[4:5], s[4:5], 0x0
	s_waitcnt lgkmcnt(0)
	v_mul_lo_u32 v6, s5, v64
	v_mul_lo_u32 v7, s4, v65
	v_mad_u64_u32 v[4:5], null, s4, v64, 0
	v_add3_u32 v5, v5, v7, v6
	v_mul_u32_u24_e32 v6, 0x9c, v3
	v_lshlrev_b64 v[3:4], 4, v[4:5]
	v_sub_nc_u32_e32 v62, v0, v6
	v_lshlrev_b32_e32 v40, 4, v62
	v_add_co_u32 v0, s0, s8, v3
	v_add_co_ci_u32_e64 v3, s0, s9, v4, s0
	v_add_co_u32 v0, s0, v0, v1
	v_add_co_ci_u32_e64 v1, s0, v3, v2, s0
	;; [unrolled: 2-line block ×3, first 2 shown]
	v_add_nc_u32_e32 v40, 0, v40
	v_add_co_u32 v4, s0, 0x800, v0
	v_add_co_ci_u32_e64 v5, s0, 0, v1, s0
	v_add_co_u32 v8, s0, 0x1000, v0
	v_add_co_ci_u32_e64 v9, s0, 0, v1, s0
	;; [unrolled: 2-line block ×9, first 2 shown]
	s_clause 0x9
	global_load_dwordx4 v[0:3], v[0:1], off
	global_load_dwordx4 v[4:7], v[4:5], off offset:448
	global_load_dwordx4 v[8:11], v[8:9], off offset:896
	;; [unrolled: 1-line block ×9, first 2 shown]
	s_waitcnt vmcnt(9)
	ds_write_b128 v40, v[0:3]
	s_waitcnt vmcnt(8)
	ds_write_b128 v40, v[4:7] offset:2496
	s_waitcnt vmcnt(7)
	ds_write_b128 v40, v[8:11] offset:4992
	;; [unrolled: 2-line block ×9, first 2 shown]
.LBB0_13:
	s_or_b32 exec_lo, exec_lo, s1
	v_lshl_add_u32 v162, v62, 4, 0
	s_waitcnt lgkmcnt(0)
	s_barrier
	buffer_gl0_inv
	s_mov_b32 s4, 0x1ea71119
	ds_read_b128 v[8:11], v162 offset:23040
	ds_read_b128 v[20:23], v162 offset:1920
	;; [unrolled: 1-line block ×4, first 2 shown]
	ds_read_b128 v[32:35], v162
	s_mov_b32 s8, 0x42a4c3d2
	s_mov_b32 s16, 0xebaa3ed8
	;; [unrolled: 1-line block ×7, first 2 shown]
	ds_read_b128 v[40:43], v162 offset:5760
	ds_read_b128 v[16:19], v162 offset:19200
	s_mov_b32 s6, 0xb2365da1
	s_mov_b32 s24, 0x2ef20147
	;; [unrolled: 1-line block ×8, first 2 shown]
	s_waitcnt lgkmcnt(5)
	v_add_f64 v[126:127], v[22:23], -v[10:11]
	v_add_f64 v[96:97], v[22:23], v[10:11]
	s_waitcnt lgkmcnt(3)
	v_add_f64 v[68:69], v[26:27], -v[14:15]
	v_add_f64 v[66:67], v[26:27], v[14:15]
	v_add_f64 v[150:151], v[20:21], v[8:9]
	v_add_f64 v[156:157], v[20:21], -v[8:9]
	v_add_f64 v[78:79], v[24:25], v[12:13]
	v_add_f64 v[118:119], v[24:25], -v[12:13]
	ds_read_b128 v[28:31], v162 offset:17280
	ds_read_b128 v[48:51], v162 offset:7680
	s_mov_b32 s35, 0x3fedeba7
	s_waitcnt lgkmcnt(2)
	v_add_f64 v[82:83], v[42:43], -v[18:19]
	v_add_f64 v[70:71], v[42:43], v[18:19]
	s_mov_b32 s34, s24
	v_add_f64 v[80:81], v[40:41], v[16:17]
	v_add_f64 v[122:123], v[40:41], -v[16:17]
	ds_read_b128 v[52:55], v162 offset:9600
	ds_read_b128 v[36:39], v162 offset:15360
	s_mov_b32 s18, 0xd0032e0c
	s_mov_b32 s28, 0x24c2f84
	;; [unrolled: 1-line block ×5, first 2 shown]
	v_mul_f64 v[152:153], v[126:127], s[8:9]
	v_mul_f64 v[154:155], v[96:97], s[4:5]
	v_mul_f64 v[158:159], v[126:127], s[22:23]
	v_mul_f64 v[160:161], v[96:97], s[16:17]
	v_mul_f64 v[88:89], v[68:69], s[24:25]
	v_mul_f64 v[98:99], v[66:67], s[6:7]
	v_mul_f64 v[130:131], v[68:69], s[20:21]
	v_mul_f64 v[142:143], v[66:67], s[14:15]
	s_waitcnt lgkmcnt(2)
	v_add_f64 v[92:93], v[50:51], -v[30:31]
	v_add_f64 v[72:73], v[50:51], v[30:31]
	s_mov_b32 s27, 0x3fec55a7
	v_mul_f64 v[94:95], v[82:83], s[20:21]
	v_mul_f64 v[114:115], v[70:71], s[14:15]
	;; [unrolled: 1-line block ×4, first 2 shown]
	s_mov_b32 s39, 0x3fddbe06
	s_mov_b32 s38, 0x4267c47c
	v_add_f64 v[84:85], v[48:49], v[28:29]
	v_add_f64 v[132:133], v[48:49], -v[28:29]
	s_waitcnt lgkmcnt(0)
	v_add_f64 v[100:101], v[54:55], -v[38:39]
	v_add_f64 v[74:75], v[54:55], v[38:39]
	ds_read_b128 v[56:59], v162 offset:11520
	ds_read_b128 v[44:47], v162 offset:13440
	v_fma_f64 v[0:1], v[150:151], s[4:5], -v[152:153]
	v_fma_f64 v[2:3], v[156:157], s[8:9], v[154:155]
	v_fma_f64 v[4:5], v[150:151], s[16:17], -v[158:159]
	v_fma_f64 v[6:7], v[156:157], s[22:23], v[160:161]
	;; [unrolled: 2-line block ×4, first 2 shown]
	v_mul_f64 v[106:107], v[92:93], s[28:29]
	v_mul_f64 v[112:113], v[72:73], s[18:19]
	;; [unrolled: 1-line block ×4, first 2 shown]
	v_fma_f64 v[104:105], v[80:81], s[14:15], -v[94:95]
	v_fma_f64 v[110:111], v[122:123], s[20:21], v[114:115]
	v_fma_f64 v[120:121], v[80:81], s[6:7], -v[136:137]
	v_fma_f64 v[128:129], v[122:123], s[34:35], v[146:147]
	s_mov_b32 s37, 0x3fefc445
	s_mov_b32 s36, s22
	v_add_f64 v[138:139], v[52:53], -v[36:37]
	v_mul_f64 v[108:109], v[100:101], s[36:37]
	v_mul_f64 v[116:117], v[74:75], s[16:17]
	;; [unrolled: 1-line block ×3, first 2 shown]
	v_add_f64 v[0:1], v[32:33], v[0:1]
	v_add_f64 v[2:3], v[34:35], v[2:3]
	;; [unrolled: 1-line block ×4, first 2 shown]
	v_mul_f64 v[134:135], v[74:75], s[4:5]
	s_mov_b32 s31, 0xbfe5384d
	s_mov_b32 s30, s28
	s_waitcnt lgkmcnt(0)
	v_add_f64 v[140:141], v[56:57], -v[44:45]
	v_fma_f64 v[163:164], v[84:85], s[18:19], -v[106:107]
	v_fma_f64 v[165:166], v[132:133], s[28:29], v[112:113]
	v_fma_f64 v[167:168], v[84:85], s[26:27], -v[144:145]
	v_fma_f64 v[169:170], v[132:133], s[38:39], v[148:149]
	s_mov_b32 s33, exec_lo
	s_barrier
	buffer_gl0_inv
	v_fma_f64 v[173:174], v[138:139], s[36:37], v[116:117]
	v_add_f64 v[0:1], v[76:77], v[0:1]
	v_add_f64 v[2:3], v[86:87], v[2:3]
	;; [unrolled: 1-line block ×5, first 2 shown]
	v_add_f64 v[102:103], v[58:59], -v[46:47]
	v_add_f64 v[76:77], v[58:59], v[46:47]
	v_add_f64 v[90:91], v[56:57], v[44:45]
	v_fma_f64 v[177:178], v[138:139], s[8:9], v[134:135]
	v_add_f64 v[0:1], v[104:105], v[0:1]
	v_add_f64 v[2:3], v[110:111], v[2:3]
	;; [unrolled: 1-line block ×4, first 2 shown]
	v_fma_f64 v[171:172], v[86:87], s[16:17], -v[108:109]
	v_mul_f64 v[104:105], v[102:103], s[38:39]
	v_mul_f64 v[110:111], v[76:77], s[26:27]
	;; [unrolled: 1-line block ×4, first 2 shown]
	v_fma_f64 v[175:176], v[86:87], s[4:5], -v[124:125]
	v_add_f64 v[0:1], v[163:164], v[0:1]
	v_add_f64 v[2:3], v[165:166], v[2:3]
	;; [unrolled: 1-line block ×4, first 2 shown]
	v_fma_f64 v[163:164], v[90:91], s[26:27], -v[104:105]
	v_fma_f64 v[165:166], v[140:141], s[38:39], v[110:111]
	v_fma_f64 v[167:168], v[90:91], s[18:19], -v[120:121]
	v_fma_f64 v[169:170], v[140:141], s[30:31], v[128:129]
	v_add_f64 v[0:1], v[171:172], v[0:1]
	v_add_f64 v[2:3], v[173:174], v[2:3]
	;; [unrolled: 1-line block ×8, first 2 shown]
	v_cmpx_gt_u32_e32 0x78, v62
	s_cbranch_execz .LBB0_15
; %bb.14:
	v_add_f64 v[22:23], v[34:35], v[22:23]
	v_add_f64 v[20:21], v[32:33], v[20:21]
	v_mul_f64 v[163:164], v[140:141], s[38:39]
	v_mul_f64 v[167:168], v[118:119], s[38:39]
	;; [unrolled: 1-line block ×13, first 2 shown]
	s_mov_b32 s1, 0x3fea55e2
	s_mov_b32 s0, s8
	v_mul_f64 v[191:192], v[140:141], s[30:31]
	v_add_f64 v[22:23], v[22:23], v[26:27]
	v_add_f64 v[20:21], v[20:21], v[24:25]
	v_mul_f64 v[24:25], v[156:157], s[8:9]
	v_mul_f64 v[26:27], v[150:151], s[16:17]
	v_add_f64 v[152:153], v[185:186], v[152:153]
	v_add_f64 v[22:23], v[22:23], v[42:43]
	;; [unrolled: 1-line block ×3, first 2 shown]
	v_mul_f64 v[40:41], v[156:157], s[22:23]
	v_mul_f64 v[42:43], v[156:157], s[20:21]
	v_add_f64 v[26:27], v[26:27], v[158:159]
	v_fma_f64 v[158:159], v[96:97], s[6:7], v[177:178]
	v_add_f64 v[24:25], v[154:155], -v[24:25]
	v_fma_f64 v[154:155], v[150:151], s[6:7], -v[181:182]
	v_fma_f64 v[177:178], v[96:97], s[6:7], -v[177:178]
	v_fma_f64 v[181:182], v[150:151], s[6:7], v[181:182]
	v_add_f64 v[152:153], v[32:33], v[152:153]
	v_add_f64 v[22:23], v[22:23], v[50:51]
	v_mul_f64 v[50:51], v[132:133], s[38:39]
	s_mov_b32 s39, 0xbfddbe06
	v_add_f64 v[20:21], v[20:21], v[48:49]
	v_mul_f64 v[48:49], v[126:127], s[20:21]
	v_mul_f64 v[156:157], v[156:157], s[38:39]
	;; [unrolled: 1-line block ×3, first 2 shown]
	v_fma_f64 v[189:190], v[96:97], s[14:15], v[42:43]
	v_fma_f64 v[42:43], v[96:97], s[14:15], -v[42:43]
	v_add_f64 v[40:41], v[160:161], -v[40:41]
	v_fma_f64 v[160:161], v[150:151], s[18:19], -v[169:170]
	v_fma_f64 v[169:170], v[150:151], s[18:19], v[169:170]
	v_add_f64 v[158:159], v[34:35], v[158:159]
	v_add_f64 v[154:155], v[32:33], v[154:155]
	;; [unrolled: 1-line block ×6, first 2 shown]
	s_mov_b32 s39, 0x3fcea1e5
	s_mov_b32 s38, s20
	v_add_f64 v[22:23], v[22:23], v[54:55]
	v_fma_f64 v[54:55], v[96:97], s[18:19], v[165:166]
	v_fma_f64 v[165:166], v[96:97], s[18:19], -v[165:166]
	v_add_f64 v[20:21], v[20:21], v[52:53]
	v_fma_f64 v[52:53], v[150:151], s[14:15], -v[48:49]
	v_fma_f64 v[48:49], v[150:151], s[14:15], v[48:49]
	v_fma_f64 v[185:186], v[96:97], s[26:27], v[156:157]
	v_fma_f64 v[96:97], v[96:97], s[26:27], -v[156:157]
	v_fma_f64 v[156:157], v[150:151], s[26:27], -v[126:127]
	v_fma_f64 v[126:127], v[150:151], s[26:27], v[126:127]
	v_add_f64 v[189:190], v[34:35], v[189:190]
	v_add_f64 v[42:43], v[34:35], v[42:43]
	v_add_f64 v[160:161], v[32:33], v[160:161]
	v_add_f64 v[169:170], v[32:33], v[169:170]
	v_add_f64 v[40:41], v[34:35], v[40:41]
	v_mul_f64 v[150:151], v[68:69], s[36:37]
	v_add_f64 v[50:51], v[148:149], -v[50:51]
	v_mul_f64 v[148:149], v[102:103], s[36:37]
	v_add_f64 v[22:23], v[22:23], v[58:59]
	v_fma_f64 v[58:59], v[78:79], s[26:27], -v[171:172]
	v_add_f64 v[54:55], v[34:35], v[54:55]
	v_add_f64 v[20:21], v[20:21], v[56:57]
	v_fma_f64 v[56:57], v[66:67], s[26:27], v[167:168]
	v_add_f64 v[52:53], v[32:33], v[52:53]
	v_add_f64 v[48:49], v[32:33], v[48:49]
	;; [unrolled: 1-line block ×7, first 2 shown]
	v_mul_f64 v[96:97], v[122:123], s[30:31]
	v_fma_f64 v[126:127], v[66:67], s[26:27], -v[167:168]
	v_mul_f64 v[167:168], v[82:83], s[30:31]
	v_fma_f64 v[171:172], v[78:79], s[26:27], v[171:172]
	v_add_f64 v[22:23], v[22:23], v[46:47]
	v_mul_f64 v[46:47], v[132:133], s[0:1]
	v_add_f64 v[20:21], v[20:21], v[44:45]
	v_fma_f64 v[44:45], v[66:67], s[16:17], v[187:188]
	v_add_f64 v[56:57], v[56:57], v[189:190]
	v_add_f64 v[52:53], v[58:59], v[52:53]
	v_fma_f64 v[189:190], v[78:79], s[16:17], -v[150:151]
	v_fma_f64 v[187:188], v[66:67], s[16:17], -v[187:188]
	v_fma_f64 v[150:151], v[78:79], s[16:17], v[150:151]
	v_fma_f64 v[58:59], v[70:71], s[18:19], v[96:97]
	v_add_f64 v[42:43], v[126:127], v[42:43]
	v_fma_f64 v[126:127], v[80:81], s[18:19], -v[167:168]
	v_add_f64 v[48:49], v[171:172], v[48:49]
	v_mul_f64 v[171:172], v[92:93], s[0:1]
	v_fma_f64 v[96:97], v[70:71], s[18:19], -v[96:97]
	v_fma_f64 v[167:168], v[80:81], s[18:19], v[167:168]
	v_add_f64 v[22:23], v[22:23], v[38:39]
	v_add_f64 v[36:37], v[20:21], v[36:37]
	;; [unrolled: 1-line block ×3, first 2 shown]
	v_mul_f64 v[54:55], v[138:139], s[24:25]
	v_add_f64 v[160:161], v[189:190], v[160:161]
	v_mul_f64 v[189:190], v[122:123], s[8:9]
	v_add_f64 v[165:166], v[187:188], v[165:166]
	v_mul_f64 v[187:188], v[132:133], s[38:39]
	v_add_f64 v[150:151], v[150:151], v[169:170]
	v_add_f64 v[56:57], v[58:59], v[56:57]
	v_fma_f64 v[58:59], v[72:73], s[4:5], v[46:47]
	v_add_f64 v[52:53], v[126:127], v[52:53]
	v_fma_f64 v[46:47], v[72:73], s[4:5], -v[46:47]
	v_fma_f64 v[126:127], v[84:85], s[4:5], -v[171:172]
	v_add_f64 v[42:43], v[96:97], v[42:43]
	v_mul_f64 v[96:97], v[100:101], s[24:25]
	v_add_f64 v[48:49], v[167:168], v[48:49]
	v_mul_f64 v[167:168], v[118:119], s[28:29]
	v_fma_f64 v[171:172], v[84:85], s[4:5], v[171:172]
	v_add_f64 v[22:23], v[22:23], v[30:31]
	v_add_f64 v[28:29], v[36:37], v[28:29]
	v_fma_f64 v[169:170], v[70:71], s[4:5], v[189:190]
	v_fma_f64 v[189:190], v[70:71], s[4:5], -v[189:190]
	v_add_f64 v[56:57], v[58:59], v[56:57]
	v_fma_f64 v[58:59], v[74:75], s[6:7], v[54:55]
	v_fma_f64 v[54:55], v[74:75], s[6:7], -v[54:55]
	v_add_f64 v[52:53], v[126:127], v[52:53]
	v_add_f64 v[42:43], v[46:47], v[42:43]
	v_fma_f64 v[126:127], v[86:87], s[6:7], -v[96:97]
	v_mul_f64 v[46:47], v[82:83], s[8:9]
	v_fma_f64 v[96:97], v[86:87], s[6:7], v[96:97]
	v_add_f64 v[48:49], v[171:172], v[48:49]
	v_fma_f64 v[171:172], v[66:67], s[18:19], v[167:168]
	v_fma_f64 v[167:168], v[66:67], s[18:19], -v[167:168]
	v_mul_f64 v[82:83], v[82:83], s[22:23]
	v_add_f64 v[18:19], v[22:23], v[18:19]
	v_add_f64 v[16:17], v[28:29], v[16:17]
	;; [unrolled: 1-line block ×3, first 2 shown]
	v_fma_f64 v[169:170], v[72:73], s[14:15], v[187:188]
	v_add_f64 v[165:166], v[189:190], v[165:166]
	v_mul_f64 v[189:190], v[118:119], s[20:21]
	v_fma_f64 v[187:188], v[72:73], s[14:15], -v[187:188]
	v_add_f64 v[56:57], v[58:59], v[56:57]
	v_mul_f64 v[58:59], v[68:69], s[28:29]
	v_mul_f64 v[68:69], v[68:69], s[8:9]
	v_add_f64 v[42:43], v[54:55], v[42:43]
	v_add_f64 v[52:53], v[126:127], v[52:53]
	v_fma_f64 v[126:127], v[80:81], s[4:5], -v[46:47]
	v_mul_f64 v[54:55], v[92:93], s[38:39]
	v_fma_f64 v[46:47], v[80:81], s[4:5], v[46:47]
	v_add_f64 v[158:159], v[171:172], v[158:159]
	v_fma_f64 v[171:172], v[70:71], s[26:27], v[179:180]
	v_add_f64 v[167:168], v[167:168], v[177:178]
	v_fma_f64 v[179:180], v[70:71], s[26:27], -v[179:180]
	v_add_f64 v[48:49], v[96:97], v[48:49]
	v_mul_f64 v[177:178], v[92:93], s[22:23]
	v_mul_f64 v[92:93], v[92:93], s[24:25]
	v_add_f64 v[16:17], v[16:17], v[12:13]
	v_add_f64 v[44:45], v[169:170], v[44:45]
	v_add_f64 v[142:143], v[142:143], -v[189:190]
	v_mul_f64 v[189:190], v[122:123], s[34:35]
	v_add_f64 v[165:166], v[187:188], v[165:166]
	v_fma_f64 v[187:188], v[86:87], s[26:27], -v[175:176]
	v_fma_f64 v[169:170], v[78:79], s[18:19], -v[58:59]
	v_fma_f64 v[175:176], v[86:87], s[26:27], v[175:176]
	v_fma_f64 v[58:59], v[78:79], s[18:19], v[58:59]
	v_add_f64 v[126:127], v[126:127], v[160:161]
	v_fma_f64 v[160:161], v[84:85], s[14:15], -v[54:55]
	v_add_f64 v[46:47], v[46:47], v[150:151]
	v_mul_f64 v[150:151], v[132:133], s[22:23]
	v_fma_f64 v[54:55], v[84:85], s[14:15], v[54:55]
	v_add_f64 v[158:159], v[171:172], v[158:159]
	v_mul_f64 v[171:172], v[78:79], s[6:7]
	v_add_f64 v[167:168], v[179:180], v[167:168]
	v_mul_f64 v[179:180], v[140:141], s[36:37]
	v_add_f64 v[8:9], v[16:17], v[8:9]
	v_mad_u32_u24 v16, 0xc0, v62, v162
	v_add_f64 v[40:41], v[142:143], v[40:41]
	v_mul_f64 v[142:143], v[122:123], s[20:21]
	v_mul_f64 v[122:123], v[122:123], s[22:23]
	v_add_f64 v[146:147], v[146:147], -v[189:190]
	v_add_f64 v[154:155], v[169:170], v[154:155]
	v_fma_f64 v[169:170], v[80:81], s[26:27], -v[183:184]
	v_mul_f64 v[189:190], v[80:81], s[14:15]
	v_add_f64 v[58:59], v[58:59], v[181:182]
	v_fma_f64 v[183:184], v[80:81], s[26:27], v[183:184]
	v_add_f64 v[126:127], v[160:161], v[126:127]
	v_fma_f64 v[160:161], v[74:75], s[26:27], v[173:174]
	v_fma_f64 v[96:97], v[72:73], s[16:17], v[150:151]
	v_fma_f64 v[150:151], v[72:73], s[16:17], -v[150:151]
	v_fma_f64 v[173:174], v[74:75], s[26:27], -v[173:174]
	v_add_f64 v[46:47], v[54:55], v[46:47]
	v_mul_f64 v[54:55], v[78:79], s[14:15]
	v_add_f64 v[88:89], v[171:172], v[88:89]
	v_fma_f64 v[171:172], v[78:79], s[4:5], v[68:69]
	v_fma_f64 v[68:69], v[78:79], s[4:5], -v[68:69]
	v_mul_f64 v[181:182], v[86:87], s[4:5]
	v_add_f64 v[40:41], v[146:147], v[40:41]
	v_mul_f64 v[146:147], v[138:139], s[8:9]
	v_add_f64 v[154:155], v[169:170], v[154:155]
	v_fma_f64 v[169:170], v[84:85], s[16:17], -v[177:178]
	v_add_f64 v[94:95], v[189:190], v[94:95]
	v_fma_f64 v[177:178], v[84:85], s[16:17], v[177:178]
	v_add_f64 v[126:127], v[187:188], v[126:127]
	v_add_f64 v[44:45], v[160:161], v[44:45]
	v_mul_f64 v[160:161], v[118:119], s[24:25]
	v_mul_f64 v[118:119], v[118:119], s[8:9]
	v_add_f64 v[150:151], v[150:151], v[167:168]
	v_fma_f64 v[167:168], v[76:77], s[16:17], v[179:180]
	v_add_f64 v[165:166], v[173:174], v[165:166]
	v_mul_f64 v[173:174], v[80:81], s[6:7]
	v_add_f64 v[54:55], v[54:55], v[130:131]
	v_add_f64 v[46:47], v[175:176], v[46:47]
	v_mul_f64 v[175:176], v[84:85], s[18:19]
	v_mul_f64 v[130:131], v[132:133], s[28:29]
	;; [unrolled: 1-line block ×3, first 2 shown]
	v_add_f64 v[88:89], v[88:89], v[152:153]
	v_fma_f64 v[152:153], v[80:81], s[16:17], v[82:83]
	v_add_f64 v[32:33], v[171:172], v[32:33]
	v_mul_f64 v[187:188], v[84:85], s[26:27]
	v_fma_f64 v[80:81], v[80:81], s[16:17], -v[82:83]
	v_add_f64 v[68:69], v[68:69], v[156:157]
	v_add_f64 v[96:97], v[96:97], v[158:159]
	v_mul_f64 v[158:159], v[86:87], s[16:17]
	v_add_f64 v[154:155], v[169:170], v[154:155]
	v_mul_f64 v[169:170], v[138:139], s[36:37]
	v_add_f64 v[36:37], v[183:184], v[58:59]
	v_add_f64 v[98:99], v[98:99], -v[160:161]
	v_fma_f64 v[38:39], v[66:67], s[4:5], -v[118:119]
	v_fma_f64 v[66:67], v[66:67], s[4:5], v[118:119]
	v_add_f64 v[20:21], v[167:168], v[56:57]
	v_add_f64 v[56:57], v[114:115], -v[142:143]
	v_add_f64 v[136:137], v[173:174], v[136:137]
	v_add_f64 v[26:27], v[54:55], v[26:27]
	v_mul_f64 v[114:115], v[138:139], s[38:39]
	v_mul_f64 v[173:174], v[102:103], s[24:25]
	v_add_f64 v[112:113], v[112:113], -v[130:131]
	v_fma_f64 v[130:131], v[72:73], s[6:7], -v[132:133]
	v_fma_f64 v[72:73], v[72:73], s[6:7], v[132:133]
	v_mul_f64 v[171:172], v[140:141], s[0:1]
	v_add_f64 v[30:31], v[152:153], v[32:33]
	v_add_f64 v[32:33], v[94:95], v[88:89]
	;; [unrolled: 1-line block ×4, first 2 shown]
	v_add_f64 v[88:89], v[134:135], -v[146:147]
	v_add_f64 v[40:41], v[50:51], v[40:41]
	v_mul_f64 v[94:95], v[102:103], s[20:21]
	v_mul_f64 v[160:161], v[90:91], s[26:27]
	v_add_f64 v[80:81], v[116:117], -v[169:170]
	v_add_f64 v[24:25], v[98:99], v[24:25]
	v_add_f64 v[34:35], v[38:39], v[34:35]
	v_fma_f64 v[38:39], v[70:71], s[16:17], -v[122:123]
	v_fma_f64 v[70:71], v[70:71], s[16:17], v[122:123]
	v_add_f64 v[66:67], v[66:67], v[185:186]
	v_mul_f64 v[98:99], v[100:101], s[38:39]
	v_mul_f64 v[100:101], v[100:101], s[30:31]
	v_add_f64 v[26:27], v[136:137], v[26:27]
	v_fma_f64 v[122:123], v[74:75], s[14:15], v[114:115]
	v_mul_f64 v[185:186], v[102:103], s[0:1]
	v_fma_f64 v[114:115], v[74:75], s[14:15], -v[114:115]
	v_mul_f64 v[54:55], v[90:91], s[18:19]
	v_add_f64 v[50:51], v[181:182], v[124:125]
	v_mul_f64 v[187:188], v[140:141], s[24:25]
	v_fma_f64 v[142:143], v[76:77], s[16:17], -v[179:180]
	v_fma_f64 v[167:168], v[90:91], s[6:7], -v[173:174]
	v_fma_f64 v[173:174], v[90:91], s[6:7], v[173:174]
	v_fma_f64 v[118:119], v[90:91], s[16:17], -v[148:149]
	v_add_f64 v[40:41], v[88:89], v[40:41]
	v_fma_f64 v[148:149], v[90:91], s[16:17], v[148:149]
	v_add_f64 v[24:25], v[56:57], v[24:25]
	v_add_f64 v[56:57], v[175:176], v[106:107]
	v_mul_f64 v[106:107], v[138:139], s[30:31]
	v_add_f64 v[34:35], v[38:39], v[34:35]
	v_fma_f64 v[38:39], v[84:85], s[6:7], v[92:93]
	v_add_f64 v[66:67], v[70:71], v[66:67]
	v_fma_f64 v[70:71], v[84:85], s[6:7], -v[92:93]
	v_fma_f64 v[82:83], v[86:87], s[14:15], -v[98:99]
	v_fma_f64 v[58:59], v[86:87], s[14:15], v[98:99]
	v_mul_f64 v[92:93], v[140:141], s[20:21]
	v_fma_f64 v[102:103], v[86:87], s[18:19], v[100:101]
	v_add_f64 v[84:85], v[158:159], v[108:109]
	v_add_f64 v[26:27], v[144:145], v[26:27]
	;; [unrolled: 1-line block ×3, first 2 shown]
	v_fma_f64 v[179:180], v[76:77], s[6:7], -v[187:188]
	v_fma_f64 v[78:79], v[76:77], s[6:7], v[187:188]
	v_add_f64 v[96:97], v[122:123], v[96:97]
	v_add_f64 v[12:13], v[148:149], v[48:49]
	;; [unrolled: 1-line block ×4, first 2 shown]
	v_fma_f64 v[98:99], v[74:75], s[18:19], -v[106:107]
	v_add_f64 v[34:35], v[130:131], v[34:35]
	v_add_f64 v[22:23], v[38:39], v[30:31]
	;; [unrolled: 1-line block ×3, first 2 shown]
	v_fma_f64 v[74:75], v[74:75], s[18:19], v[106:107]
	v_add_f64 v[66:67], v[72:73], v[66:67]
	v_fma_f64 v[72:73], v[86:87], s[18:19], -v[100:101]
	v_add_f64 v[68:69], v[70:71], v[68:69]
	v_add_f64 v[100:101], v[18:19], v[14:15]
	v_fma_f64 v[32:33], v[76:77], s[4:5], -v[171:172]
	v_add_f64 v[36:37], v[114:115], v[150:151]
	v_add_f64 v[38:39], v[128:129], -v[191:192]
	v_fma_f64 v[88:89], v[76:77], s[14:15], -v[92:93]
	v_add_f64 v[70:71], v[110:111], -v[163:164]
	v_add_f64 v[86:87], v[160:161], v[104:105]
	v_add_f64 v[26:27], v[50:51], v[26:27]
	v_fma_f64 v[56:57], v[90:91], s[4:5], v[185:186]
	v_add_f64 v[82:83], v[82:83], v[154:155]
	v_add_f64 v[14:15], v[142:143], v[42:43]
	;; [unrolled: 1-line block ×7, first 2 shown]
	v_fma_f64 v[98:99], v[90:91], s[14:15], v[94:95]
	v_add_f64 v[22:23], v[102:103], v[22:23]
	v_add_f64 v[50:51], v[58:59], v[30:31]
	v_fma_f64 v[58:59], v[76:77], s[4:5], v[171:172]
	v_fma_f64 v[102:103], v[90:91], s[4:5], -v[185:186]
	v_fma_f64 v[76:77], v[76:77], s[14:15], v[92:93]
	v_add_f64 v[66:67], v[74:75], v[66:67]
	v_fma_f64 v[74:75], v[90:91], s[14:15], -v[94:95]
	v_add_f64 v[68:69], v[72:73], v[68:69]
	v_add_f64 v[10:11], v[100:101], v[10:11]
	;; [unrolled: 1-line block ×17, first 2 shown]
	ds_write_b128 v16, v[8:11]
	ds_write_b128 v16, v[38:41] offset:16
	ds_write_b128 v16, v[34:37] offset:32
	;; [unrolled: 1-line block ×12, first 2 shown]
.LBB0_15:
	s_or_b32 exec_lo, exec_lo, s33
	v_and_b32_e32 v8, 0xff, v62
	v_add_nc_u32_e32 v48, 0x9c, v62
	v_mov_b32_e32 v9, 0x4ec5
	v_add_nc_u32_e32 v52, 0x138, v62
	v_add_nc_u32_e32 v51, 0x1d4, v62
	v_mul_lo_u16 v8, 0x4f, v8
	v_add_nc_u32_e32 v50, 0x270, v62
	v_mul_u32_u24_sdwa v47, v48, v9 dst_sel:DWORD dst_unused:UNUSED_PAD src0_sel:WORD_0 src1_sel:DWORD
	v_mul_u32_u24_sdwa v49, v52, v9 dst_sel:DWORD dst_unused:UNUSED_PAD src0_sel:WORD_0 src1_sel:DWORD
	;; [unrolled: 1-line block ×3, first 2 shown]
	v_lshrrev_b16 v11, 10, v8
	v_mul_u32_u24_sdwa v94, v50, v9 dst_sel:DWORD dst_unused:UNUSED_PAD src0_sel:WORD_0 src1_sel:DWORD
	v_lshrrev_b32_e32 v63, 18, v47
	v_lshrrev_b32_e32 v95, 18, v49
	v_lshrrev_b32_e32 v96, 18, v59
	v_mul_lo_u16 v10, v11, 13
	v_lshrrev_b32_e32 v97, 18, v94
	v_mov_b32_e32 v12, 4
	v_mul_lo_u16 v13, v95, 13
	v_mul_lo_u16 v14, v96, 13
	v_sub_nc_u16 v9, v62, v10
	v_mul_lo_u16 v10, v63, 13
	v_mul_lo_u16 v15, v97, 13
	v_sub_nc_u16 v13, v52, v13
	s_load_dwordx2 s[2:3], s[2:3], 0x0
	v_lshlrev_b32_sdwa v98, v12, v9 dst_sel:DWORD dst_unused:UNUSED_PAD src0_sel:DWORD src1_sel:BYTE_0
	v_sub_nc_u16 v10, v48, v10
	v_sub_nc_u16 v9, v51, v14
	s_waitcnt lgkmcnt(0)
	s_barrier
	buffer_gl0_inv
	v_lshlrev_b32_sdwa v99, v12, v10 dst_sel:DWORD dst_unused:UNUSED_PAD src0_sel:DWORD src1_sel:WORD_0
	v_sub_nc_u16 v10, v50, v15
	v_lshlrev_b32_sdwa v100, v12, v13 dst_sel:DWORD dst_unused:UNUSED_PAD src0_sel:DWORD src1_sel:WORD_0
	global_load_dwordx4 v[13:16], v98, s[12:13]
	v_lshlrev_b32_sdwa v101, v12, v9 dst_sel:DWORD dst_unused:UNUSED_PAD src0_sel:DWORD src1_sel:WORD_0
	global_load_dwordx4 v[17:20], v99, s[12:13]
	v_lshlrev_b32_sdwa v102, v12, v10 dst_sel:DWORD dst_unused:UNUSED_PAD src0_sel:DWORD src1_sel:WORD_0
	s_clause 0x2
	global_load_dwordx4 v[21:24], v100, s[12:13]
	global_load_dwordx4 v[25:28], v101, s[12:13]
	;; [unrolled: 1-line block ×3, first 2 shown]
	ds_read_b128 v[33:36], v162 offset:12480
	ds_read_b128 v[37:40], v162 offset:14976
	;; [unrolled: 1-line block ×6, first 2 shown]
	ds_read_b128 v[74:77], v162
	ds_read_b128 v[78:81], v162 offset:2496
	ds_read_b128 v[82:85], v162 offset:4992
	;; [unrolled: 1-line block ×3, first 2 shown]
	v_lshrrev_b16 v103, 11, v8
	v_lshrrev_b32_e32 v47, 19, v47
	v_lshrrev_b32_e32 v49, 19, v49
	;; [unrolled: 1-line block ×4, first 2 shown]
	s_waitcnt vmcnt(0) lgkmcnt(0)
	s_barrier
	buffer_gl0_inv
	s_mov_b32 s6, 0x134454ff
	s_mov_b32 s7, 0xbfee6f0e
	;; [unrolled: 1-line block ×16, first 2 shown]
	v_mul_f64 v[9:10], v[35:36], v[15:16]
	v_mul_f64 v[15:16], v[33:34], v[15:16]
	;; [unrolled: 1-line block ×10, first 2 shown]
	v_fma_f64 v[9:10], v[33:34], v[13:14], v[9:10]
	v_fma_f64 v[15:16], v[35:36], v[13:14], -v[15:16]
	v_fma_f64 v[33:34], v[37:38], v[17:18], v[45:46]
	v_fma_f64 v[19:20], v[39:40], v[17:18], -v[19:20]
	;; [unrolled: 2-line block ×5, first 2 shown]
	v_mov_b32_e32 v13, 0x1a0
	v_mul_lo_u16 v57, v59, 26
	v_mul_lo_u16 v58, v94, 26
	v_mul_u32_u24_e32 v45, 0x1a0, v96
	v_mul_u32_u24_e32 v46, 0x1a0, v97
	v_mul_u32_u24_sdwa v11, v11, v13 dst_sel:DWORD dst_unused:UNUSED_PAD src0_sel:WORD_0 src1_sel:DWORD
	v_sub_nc_u16 v57, v51, v57
	v_sub_nc_u16 v58, v50, v58
	v_add3_u32 v45, 0, v45, v101
	v_add3_u32 v46, 0, v46, v102
	;; [unrolled: 1-line block ×3, first 2 shown]
	v_lshlrev_b32_sdwa v97, v12, v57 dst_sel:DWORD dst_unused:UNUSED_PAD src0_sel:DWORD src1_sel:WORD_0
	v_add_f64 v[13:14], v[74:75], -v[9:10]
	v_add_f64 v[15:16], v[76:77], -v[15:16]
	;; [unrolled: 1-line block ×10, first 2 shown]
	v_mul_lo_u16 v33, v103, 26
	v_mul_lo_u16 v34, v47, 26
	v_mul_lo_u16 v35, v49, 26
	v_mul_u32_u24_e32 v9, 0x1a0, v63
	v_mul_u32_u24_e32 v10, 0x1a0, v95
	v_sub_nc_u16 v63, v62, v33
	v_sub_nc_u16 v90, v48, v34
	;; [unrolled: 1-line block ×3, first 2 shown]
	v_add3_u32 v9, 0, v9, v99
	v_add3_u32 v10, 0, v10, v100
	v_lshlrev_b32_sdwa v63, v12, v63 dst_sel:DWORD dst_unused:UNUSED_PAD src0_sel:DWORD src1_sel:BYTE_0
	v_lshlrev_b32_sdwa v95, v12, v90 dst_sel:DWORD dst_unused:UNUSED_PAD src0_sel:DWORD src1_sel:WORD_0
	v_fma_f64 v[33:34], v[74:75], 2.0, -v[13:14]
	v_fma_f64 v[35:36], v[76:77], 2.0, -v[15:16]
	;; [unrolled: 1-line block ×10, first 2 shown]
	v_lshlrev_b32_sdwa v96, v12, v91 dst_sel:DWORD dst_unused:UNUSED_PAD src0_sel:DWORD src1_sel:WORD_0
	v_lshlrev_b32_sdwa v98, v12, v58 dst_sel:DWORD dst_unused:UNUSED_PAD src0_sel:DWORD src1_sel:WORD_0
	v_mul_u32_u24_e32 v47, 0x340, v47
	v_mul_u32_u24_e32 v49, 0x340, v49
	;; [unrolled: 1-line block ×3, first 2 shown]
	ds_write_b128 v11, v[13:16] offset:208
	ds_write_b128 v11, v[33:36]
	ds_write_b128 v9, v[37:40]
	ds_write_b128 v9, v[17:20] offset:208
	ds_write_b128 v10, v[41:44]
	ds_write_b128 v10, v[21:24] offset:208
	;; [unrolled: 2-line block ×4, first 2 shown]
	s_waitcnt lgkmcnt(0)
	s_barrier
	buffer_gl0_inv
	s_clause 0x4
	global_load_dwordx4 v[13:16], v63, s[12:13] offset:208
	global_load_dwordx4 v[17:20], v95, s[12:13] offset:208
	;; [unrolled: 1-line block ×5, first 2 shown]
	ds_read_b128 v[33:36], v162 offset:12480
	ds_read_b128 v[37:40], v162 offset:14976
	;; [unrolled: 1-line block ×6, first 2 shown]
	ds_read_b128 v[74:77], v162
	ds_read_b128 v[78:81], v162 offset:2496
	ds_read_b128 v[82:85], v162 offset:4992
	;; [unrolled: 1-line block ×3, first 2 shown]
	v_add3_u32 v47, 0, v47, v95
	v_add3_u32 v49, 0, v49, v96
	;; [unrolled: 1-line block ×3, first 2 shown]
	s_waitcnt vmcnt(0) lgkmcnt(0)
	s_barrier
	buffer_gl0_inv
	v_mul_f64 v[57:58], v[43:44], v[23:24]
	v_mul_f64 v[9:10], v[35:36], v[15:16]
	;; [unrolled: 1-line block ×10, first 2 shown]
	v_fma_f64 v[9:10], v[33:34], v[13:14], v[9:10]
	v_fma_f64 v[13:14], v[35:36], v[13:14], -v[15:16]
	v_fma_f64 v[33:34], v[37:38], v[17:18], v[45:46]
	v_fma_f64 v[35:36], v[39:40], v[17:18], -v[19:20]
	;; [unrolled: 2-line block ×5, first 2 shown]
	v_mov_b32_e32 v57, 9
	v_mul_u32_u24_e32 v66, 0x340, v94
	v_add_f64 v[15:16], v[74:75], -v[9:10]
	v_add_f64 v[17:18], v[76:77], -v[13:14]
	v_add_f64 v[19:20], v[78:79], -v[33:34]
	v_add_f64 v[21:22], v[80:81], -v[35:36]
	v_add_f64 v[23:24], v[82:83], -v[37:38]
	v_add_f64 v[25:26], v[84:85], -v[39:40]
	v_add_f64 v[27:28], v[86:87], -v[41:42]
	v_add_f64 v[29:30], v[88:89], -v[43:44]
	v_add_f64 v[31:32], v[70:71], -v[45:46]
	v_add_f64 v[33:34], v[72:73], -v[53:54]
	v_lshrrev_b16 v13, 12, v8
	v_mov_b32_e32 v8, 0x340
	v_mul_lo_u16 v9, v13, 52
	v_mul_u32_u24_sdwa v58, v103, v8 dst_sel:DWORD dst_unused:UNUSED_PAD src0_sel:WORD_0 src1_sel:DWORD
	v_sub_nc_u16 v14, v62, v9
	v_add3_u32 v58, 0, v58, v63
	v_fma_f64 v[8:9], v[74:75], 2.0, -v[15:16]
	v_fma_f64 v[10:11], v[76:77], 2.0, -v[17:18]
	v_fma_f64 v[35:36], v[78:79], 2.0, -v[19:20]
	v_fma_f64 v[37:38], v[80:81], 2.0, -v[21:22]
	v_fma_f64 v[39:40], v[82:83], 2.0, -v[23:24]
	v_fma_f64 v[41:42], v[84:85], 2.0, -v[25:26]
	v_fma_f64 v[43:44], v[86:87], 2.0, -v[27:28]
	v_fma_f64 v[45:46], v[88:89], 2.0, -v[29:30]
	v_fma_f64 v[53:54], v[70:71], 2.0, -v[31:32]
	v_fma_f64 v[55:56], v[72:73], 2.0, -v[33:34]
	v_mul_u32_u24_sdwa v57, v14, v57 dst_sel:DWORD dst_unused:UNUSED_PAD src0_sel:BYTE_0 src1_sel:DWORD
	v_add3_u32 v63, 0, v66, v98
	v_lshlrev_b32_sdwa v12, v12, v14 dst_sel:DWORD dst_unused:UNUSED_PAD src0_sel:DWORD src1_sel:BYTE_0
	ds_write_b128 v58, v[15:18] offset:416
	ds_write_b128 v58, v[8:11]
	ds_write_b128 v47, v[35:38]
	ds_write_b128 v47, v[19:22] offset:416
	ds_write_b128 v49, v[39:42]
	ds_write_b128 v49, v[23:26] offset:416
	;; [unrolled: 2-line block ×4, first 2 shown]
	v_lshlrev_b32_e32 v57, 4, v57
	s_waitcnt lgkmcnt(0)
	s_barrier
	buffer_gl0_inv
	s_clause 0x8
	global_load_dwordx4 v[8:11], v57, s[12:13] offset:656
	global_load_dwordx4 v[15:18], v57, s[12:13] offset:688
	;; [unrolled: 1-line block ×9, first 2 shown]
	ds_read_b128 v[53:56], v162 offset:7488
	ds_read_b128 v[66:69], v162 offset:12480
	ds_read_b128 v[70:73], v162 offset:17472
	ds_read_b128 v[74:77], v162 offset:22464
	ds_read_b128 v[78:81], v162 offset:2496
	ds_read_b128 v[82:85], v162 offset:4992
	ds_read_b128 v[86:89], v162 offset:9984
	ds_read_b128 v[90:93], v162 offset:14976
	ds_read_b128 v[94:97], v162 offset:19968
	ds_read_b128 v[98:101], v162
	v_mov_b32_e32 v47, 0x2080
	s_waitcnt vmcnt(0) lgkmcnt(0)
	s_barrier
	buffer_gl0_inv
	v_mul_u32_u24_sdwa v13, v13, v47 dst_sel:DWORD dst_unused:UNUSED_PAD src0_sel:WORD_0 src1_sel:DWORD
	v_add3_u32 v12, 0, v13, v12
	v_mul_f64 v[57:58], v[53:54], v[10:11]
	v_mul_f64 v[102:103], v[66:67], v[17:18]
	;; [unrolled: 1-line block ×18, first 2 shown]
	v_fma_f64 v[55:56], v[55:56], v[8:9], -v[57:58]
	v_fma_f64 v[57:58], v[68:69], v[15:16], -v[102:103]
	;; [unrolled: 1-line block ×4, first 2 shown]
	v_fma_f64 v[8:9], v[53:54], v[8:9], v[10:11]
	v_fma_f64 v[15:16], v[66:67], v[15:16], v[17:18]
	;; [unrolled: 1-line block ×4, first 2 shown]
	v_fma_f64 v[23:24], v[80:81], v[27:28], -v[108:109]
	v_fma_f64 v[76:77], v[82:83], v[31:32], v[110:111]
	v_fma_f64 v[31:32], v[84:85], v[31:32], -v[33:34]
	v_fma_f64 v[10:11], v[86:87], v[35:36], v[112:113]
	;; [unrolled: 2-line block ×3, first 2 shown]
	v_fma_f64 v[39:40], v[92:93], v[39:40], -v[41:42]
	v_fma_f64 v[37:38], v[96:97], v[43:44], -v[116:117]
	v_fma_f64 v[17:18], v[94:95], v[43:44], v[45:46]
	v_fma_f64 v[27:28], v[78:79], v[27:28], v[29:30]
	v_add_f64 v[108:109], v[55:56], -v[57:58]
	v_add_f64 v[25:26], v[57:58], v[68:69]
	v_add_f64 v[41:42], v[55:56], v[72:73]
	v_add_f64 v[106:107], v[55:56], -v[72:73]
	v_add_f64 v[110:111], v[72:73], -v[68:69]
	;; [unrolled: 1-line block ×3, first 2 shown]
	v_add_f64 v[74:75], v[15:16], v[19:20]
	v_add_f64 v[78:79], v[8:9], v[21:22]
	v_add_f64 v[80:81], v[8:9], -v[21:22]
	v_add_f64 v[82:83], v[15:16], -v[19:20]
	v_add_f64 v[29:30], v[98:99], v[76:77]
	v_add_f64 v[66:67], v[76:77], -v[10:11]
	v_add_f64 v[112:113], v[57:58], -v[55:56]
	v_add_f64 v[43:44], v[10:11], v[35:36]
	v_add_f64 v[92:93], v[33:34], v[39:40]
	;; [unrolled: 1-line block ×3, first 2 shown]
	v_add_f64 v[70:71], v[17:18], -v[35:36]
	v_add_f64 v[84:85], v[76:77], v[17:18]
	v_add_f64 v[114:115], v[68:69], -v[72:73]
	v_add_f64 v[90:91], v[100:101], v[31:32]
	v_add_f64 v[45:46], v[31:32], -v[37:38]
	v_add_f64 v[53:54], v[33:34], -v[39:40]
	;; [unrolled: 1-line block ×3, first 2 shown]
	v_fma_f64 v[25:26], v[25:26], -0.5, v[23:24]
	v_fma_f64 v[41:42], v[41:42], -0.5, v[23:24]
	v_add_f64 v[23:24], v[23:24], v[55:56]
	v_add_f64 v[88:89], v[35:36], -v[17:18]
	v_add_f64 v[76:77], v[76:77], -v[17:18]
	v_fma_f64 v[74:75], v[74:75], -0.5, v[27:28]
	v_fma_f64 v[78:79], v[78:79], -0.5, v[27:28]
	v_add_f64 v[27:28], v[27:28], v[8:9]
	v_add_f64 v[94:95], v[10:11], -v[35:36]
	v_add_f64 v[124:125], v[8:9], -v[15:16]
	v_add_f64 v[126:127], v[21:22], -v[19:20]
	v_add_f64 v[10:11], v[29:30], v[10:11]
	v_fma_f64 v[43:44], v[43:44], -0.5, v[98:99]
	v_add_f64 v[8:9], v[15:16], -v[8:9]
	v_add_f64 v[128:129], v[19:20], -v[21:22]
	v_add_f64 v[55:56], v[66:67], v[70:71]
	v_fma_f64 v[29:30], v[84:85], -0.5, v[98:99]
	v_fma_f64 v[66:67], v[92:93], -0.5, v[100:101]
	;; [unrolled: 1-line block ×3, first 2 shown]
	v_add_f64 v[84:85], v[108:109], v[110:111]
	v_add_f64 v[92:93], v[112:113], v[114:115]
	v_add_f64 v[96:97], v[31:32], -v[33:34]
	v_fma_f64 v[120:121], v[80:81], s[4:5], v[25:26]
	v_fma_f64 v[122:123], v[82:83], s[6:7], v[41:42]
	;; [unrolled: 1-line block ×4, first 2 shown]
	v_add_f64 v[31:32], v[33:34], -v[31:32]
	v_fma_f64 v[98:99], v[106:107], s[6:7], v[74:75]
	v_fma_f64 v[100:101], v[116:117], s[4:5], v[78:79]
	;; [unrolled: 1-line block ×4, first 2 shown]
	v_add_f64 v[33:34], v[90:91], v[33:34]
	v_add_f64 v[15:16], v[27:28], v[15:16]
	;; [unrolled: 1-line block ×3, first 2 shown]
	v_add_f64 v[102:103], v[37:38], -v[39:40]
	v_add_f64 v[27:28], v[124:125], v[126:127]
	v_fma_f64 v[57:58], v[45:46], s[6:7], v[43:44]
	v_fma_f64 v[43:44], v[45:46], s[4:5], v[43:44]
	v_add_f64 v[118:119], v[39:40], -v[37:38]
	v_add_f64 v[8:9], v[8:9], v[128:129]
	v_add_f64 v[10:11], v[10:11], v[35:36]
	v_fma_f64 v[104:105], v[82:83], s[14:15], v[120:121]
	v_fma_f64 v[108:109], v[80:81], s[14:15], v[122:123]
	;; [unrolled: 1-line block ×4, first 2 shown]
	v_add_f64 v[80:81], v[86:87], v[88:89]
	v_fma_f64 v[82:83], v[53:54], s[4:5], v[29:30]
	v_fma_f64 v[29:30], v[53:54], s[6:7], v[29:30]
	v_fma_f64 v[86:87], v[76:77], s[4:5], v[66:67]
	v_fma_f64 v[66:67], v[76:77], s[6:7], v[66:67]
	v_fma_f64 v[88:89], v[94:95], s[6:7], v[70:71]
	v_fma_f64 v[70:71], v[94:95], s[4:5], v[70:71]
	v_fma_f64 v[90:91], v[116:117], s[8:9], v[98:99]
	v_fma_f64 v[98:99], v[106:107], s[8:9], v[100:101]
	v_fma_f64 v[74:75], v[116:117], s[14:15], v[74:75]
	v_fma_f64 v[78:79], v[106:107], s[14:15], v[78:79]
	v_add_f64 v[33:34], v[33:34], v[39:40]
	v_add_f64 v[15:16], v[15:16], v[19:20]
	v_add_f64 v[19:20], v[23:24], v[68:69]
	v_fma_f64 v[23:24], v[53:54], s[8:9], v[57:58]
	v_fma_f64 v[35:36], v[53:54], s[14:15], v[43:44]
	v_add_f64 v[31:32], v[31:32], v[118:119]
	v_add_f64 v[10:11], v[10:11], v[17:18]
	v_fma_f64 v[100:101], v[84:85], s[0:1], v[104:105]
	v_fma_f64 v[104:105], v[92:93], s[0:1], v[108:109]
	v_fma_f64 v[41:42], v[92:93], s[0:1], v[41:42]
	v_fma_f64 v[25:26], v[84:85], s[0:1], v[25:26]
	v_add_f64 v[84:85], v[96:97], v[102:103]
	v_fma_f64 v[39:40], v[45:46], s[8:9], v[82:83]
	v_fma_f64 v[29:30], v[45:46], s[14:15], v[29:30]
	;; [unrolled: 1-line block ×10, first 2 shown]
	v_add_f64 v[33:34], v[33:34], v[37:38]
	v_add_f64 v[21:22], v[15:16], v[21:22]
	;; [unrolled: 1-line block ×3, first 2 shown]
	v_fma_f64 v[72:73], v[55:56], s[0:1], v[23:24]
	v_fma_f64 v[55:56], v[55:56], s[0:1], v[35:36]
	v_mul_f64 v[70:71], v[100:101], s[8:9]
	v_mul_f64 v[82:83], v[100:101], s[16:17]
	;; [unrolled: 1-line block ×8, first 2 shown]
	v_fma_f64 v[88:89], v[80:81], s[0:1], v[39:40]
	v_fma_f64 v[90:91], v[84:85], s[0:1], v[43:44]
	;; [unrolled: 1-line block ×6, first 2 shown]
	v_add_f64 v[15:16], v[10:11], v[21:22]
	v_add_f64 v[17:18], v[33:34], v[37:38]
	v_add_f64 v[19:20], v[10:11], -v[21:22]
	v_add_f64 v[21:22], v[33:34], -v[37:38]
	v_fma_f64 v[39:40], v[66:67], s[16:17], v[70:71]
	v_fma_f64 v[66:67], v[66:67], s[14:15], v[82:83]
	;; [unrolled: 1-line block ×8, first 2 shown]
	v_cmp_gt_u32_e64 s0, 52, v62
	v_add_f64 v[23:24], v[72:73], v[39:40]
	v_add_f64 v[25:26], v[90:91], v[66:67]
	;; [unrolled: 1-line block ×8, first 2 shown]
	v_add_f64 v[39:40], v[72:73], -v[39:40]
	v_add_f64 v[41:42], v[90:91], -v[66:67]
	v_add_f64 v[43:44], v[88:89], -v[43:44]
	v_add_f64 v[45:46], v[45:46], -v[68:69]
	v_add_f64 v[53:54], v[80:81], -v[53:54]
	v_add_f64 v[8:9], v[55:56], -v[70:71]
	v_add_f64 v[55:56], v[57:58], -v[74:75]
	v_add_f64 v[10:11], v[84:85], -v[76:77]
	ds_write_b128 v12, v[15:18]
	ds_write_b128 v12, v[19:22] offset:4160
	ds_write_b128 v12, v[23:26] offset:832
	;; [unrolled: 1-line block ×9, first 2 shown]
	s_waitcnt lgkmcnt(0)
	s_barrier
	buffer_gl0_inv
	ds_read_b128 v[20:23], v162
	ds_read_b128 v[12:15], v162 offset:2496
	ds_read_b128 v[36:39], v162 offset:16640
	;; [unrolled: 1-line block ×8, first 2 shown]
	s_and_saveexec_b32 s1, s0
	s_cbranch_execz .LBB0_17
; %bb.16:
	ds_read_b128 v[8:11], v162 offset:7488
	ds_read_b128 v[0:3], v162 offset:15808
	;; [unrolled: 1-line block ×3, first 2 shown]
.LBB0_17:
	s_or_b32 exec_lo, exec_lo, s1
	v_lshlrev_b32_e32 v53, 1, v62
	v_mov_b32_e32 v54, 0
	s_mov_b32 s4, 0xe8584caa
	s_mov_b32 s5, 0xbfebb67a
	;; [unrolled: 1-line block ×4, first 2 shown]
	v_lshlrev_b64 v[55:56], 4, v[53:54]
	v_lshlrev_b32_e32 v53, 1, v48
	v_lshlrev_b64 v[70:71], 4, v[53:54]
	v_add_co_u32 v49, s1, s12, v55
	v_add_co_ci_u32_e64 v57, s1, s13, v56, s1
	v_lshlrev_b32_e32 v53, 1, v52
	v_add_co_u32 v55, s1, 0x1800, v49
	v_add_co_ci_u32_e64 v56, s1, 0, v57, s1
	v_add_co_u32 v66, s1, 0x1fb0, v49
	v_add_co_ci_u32_e64 v67, s1, 0, v57, s1
	;; [unrolled: 2-line block ×3, first 2 shown]
	v_lshlrev_b64 v[70:71], 4, v[53:54]
	v_add_co_u32 v74, s1, 0x1fb0, v49
	v_add_co_ci_u32_e64 v75, s1, 0, v59, s1
	s_clause 0x1
	global_load_dwordx4 v[55:58], v[55:56], off offset:1968
	global_load_dwordx4 v[66:69], v[66:67], off offset:16
	v_add_co_u32 v53, s1, s12, v70
	v_add_co_ci_u32_e64 v63, s1, s13, v71, s1
	v_add_co_u32 v70, s1, 0x1800, v49
	v_add_co_ci_u32_e64 v71, s1, 0, v59, s1
	;; [unrolled: 2-line block ×4, first 2 shown]
	s_clause 0x3
	global_load_dwordx4 v[70:73], v[70:71], off offset:1968
	global_load_dwordx4 v[74:77], v[74:75], off offset:16
	;; [unrolled: 1-line block ×4, first 2 shown]
	s_waitcnt vmcnt(0) lgkmcnt(0)
	s_barrier
	buffer_gl0_inv
	v_mul_f64 v[86:87], v[46:47], v[57:58]
	v_mul_f64 v[88:89], v[38:39], v[68:69]
	;; [unrolled: 1-line block ×12, first 2 shown]
	v_fma_f64 v[44:45], v[44:45], v[55:56], v[86:87]
	v_fma_f64 v[36:37], v[36:37], v[66:67], v[88:89]
	v_fma_f64 v[46:47], v[46:47], v[55:56], -v[57:58]
	v_fma_f64 v[38:39], v[38:39], v[66:67], -v[68:69]
	v_fma_f64 v[40:41], v[40:41], v[70:71], v[90:91]
	v_fma_f64 v[24:25], v[24:25], v[74:75], v[92:93]
	v_fma_f64 v[42:43], v[42:43], v[70:71], -v[72:73]
	v_fma_f64 v[26:27], v[26:27], v[74:75], -v[76:77]
	;; [unrolled: 4-line block ×3, first 2 shown]
	v_add_f64 v[74:75], v[20:21], v[44:45]
	v_add_f64 v[55:56], v[44:45], v[36:37]
	v_add_f64 v[44:45], v[44:45], -v[36:37]
	v_add_f64 v[57:58], v[46:47], v[38:39]
	v_add_f64 v[76:77], v[46:47], -v[38:39]
	v_add_f64 v[46:47], v[22:23], v[46:47]
	v_add_f64 v[78:79], v[12:13], v[40:41]
	;; [unrolled: 1-line block ×9, first 2 shown]
	v_add_f64 v[42:43], v[42:43], -v[26:27]
	v_fma_f64 v[55:56], v[55:56], -0.5, v[20:21]
	v_add_f64 v[40:41], v[40:41], -v[24:25]
	v_fma_f64 v[57:58], v[57:58], -0.5, v[22:23]
	v_add_f64 v[86:87], v[30:31], -v[34:35]
	v_add_f64 v[88:89], v[28:29], -v[32:33]
	v_fma_f64 v[66:67], v[66:67], -0.5, v[12:13]
	v_add_f64 v[12:13], v[74:75], v[36:37]
	v_fma_f64 v[68:69], v[68:69], -0.5, v[14:15]
	v_add_f64 v[14:15], v[46:47], v[38:39]
	;; [unrolled: 2-line block ×4, first 2 shown]
	v_add_f64 v[20:21], v[82:83], v[32:33]
	v_add_f64 v[22:23], v[84:85], v[34:35]
	v_fma_f64 v[24:25], v[76:77], s[4:5], v[55:56]
	v_fma_f64 v[26:27], v[44:45], s[6:7], v[57:58]
	;; [unrolled: 1-line block ×12, first 2 shown]
	ds_write_b128 v162, v[12:15]
	ds_write_b128 v162, v[16:19] offset:2496
	ds_write_b128 v162, v[20:23] offset:4992
	;; [unrolled: 1-line block ×8, first 2 shown]
	s_and_saveexec_b32 s1, s0
	s_cbranch_execz .LBB0_19
; %bb.18:
	v_subrev_nc_u32_e32 v12, 52, v62
	v_cndmask_b32_e64 v12, v12, v51, s0
	v_lshlrev_b32_e32 v53, 1, v12
	v_lshlrev_b64 v[12:13], 4, v[53:54]
	v_add_co_u32 v14, s0, s12, v12
	v_add_co_ci_u32_e64 v15, s0, s13, v13, s0
	v_add_co_u32 v12, s0, 0x1800, v14
	v_add_co_ci_u32_e64 v13, s0, 0, v15, s0
	v_add_co_u32 v16, s0, 0x1fb0, v14
	v_add_co_ci_u32_e64 v17, s0, 0, v15, s0
	s_clause 0x1
	global_load_dwordx4 v[12:15], v[12:13], off offset:1968
	global_load_dwordx4 v[16:19], v[16:17], off offset:16
	s_waitcnt vmcnt(1)
	v_mul_f64 v[20:21], v[0:1], v[14:15]
	s_waitcnt vmcnt(0)
	v_mul_f64 v[22:23], v[4:5], v[18:19]
	v_mul_f64 v[14:15], v[2:3], v[14:15]
	;; [unrolled: 1-line block ×3, first 2 shown]
	v_fma_f64 v[2:3], v[2:3], v[12:13], -v[20:21]
	v_fma_f64 v[6:7], v[6:7], v[16:17], -v[22:23]
	v_fma_f64 v[0:1], v[0:1], v[12:13], v[14:15]
	v_fma_f64 v[4:5], v[4:5], v[16:17], v[18:19]
	v_add_f64 v[18:19], v[10:11], v[2:3]
	v_add_f64 v[12:13], v[2:3], v[6:7]
	;; [unrolled: 1-line block ×3, first 2 shown]
	v_add_f64 v[16:17], v[0:1], -v[4:5]
	v_add_f64 v[0:1], v[8:9], v[0:1]
	v_fma_f64 v[10:11], v[12:13], -0.5, v[10:11]
	v_add_f64 v[12:13], v[2:3], -v[6:7]
	v_fma_f64 v[14:15], v[14:15], -0.5, v[8:9]
	v_add_f64 v[2:3], v[18:19], v[6:7]
	v_add_f64 v[0:1], v[0:1], v[4:5]
	v_fma_f64 v[6:7], v[16:17], s[4:5], v[10:11]
	v_fma_f64 v[10:11], v[16:17], s[6:7], v[10:11]
	v_fma_f64 v[8:9], v[12:13], s[4:5], v[14:15]
	v_fma_f64 v[4:5], v[12:13], s[6:7], v[14:15]
	ds_write_b128 v162, v[0:3] offset:7488
	ds_write_b128 v162, v[8:11] offset:15808
	;; [unrolled: 1-line block ×3, first 2 shown]
.LBB0_19:
	s_or_b32 exec_lo, exec_lo, s1
	s_waitcnt lgkmcnt(0)
	s_barrier
	buffer_gl0_inv
	ds_read_b128 v[4:7], v162
	v_lshlrev_b32_e32 v0, 4, v62
	s_add_u32 s1, s12, 0x60b0
	s_addc_u32 s4, s13, 0
	s_mov_b32 s5, exec_lo
                                        ; implicit-def: $vgpr8_vgpr9
                                        ; implicit-def: $vgpr10_vgpr11
	v_sub_nc_u32_e32 v12, 0, v0
                                        ; implicit-def: $vgpr0_vgpr1
	v_cmpx_ne_u32_e32 0, v62
	s_xor_b32 s5, exec_lo, s5
	s_cbranch_execz .LBB0_21
; %bb.20:
	v_mov_b32_e32 v63, 0
	v_lshlrev_b64 v[0:1], 4, v[62:63]
	v_add_co_u32 v0, s0, s1, v0
	v_add_co_ci_u32_e64 v1, s0, s4, v1, s0
	global_load_dwordx4 v[13:16], v[0:1], off
	ds_read_b128 v[0:3], v12 offset:24960
	s_waitcnt lgkmcnt(0)
	v_add_f64 v[8:9], v[4:5], -v[0:1]
	v_add_f64 v[10:11], v[6:7], v[2:3]
	v_add_f64 v[2:3], v[6:7], -v[2:3]
	v_add_f64 v[0:1], v[4:5], v[0:1]
	v_mul_f64 v[6:7], v[8:9], 0.5
	v_mul_f64 v[4:5], v[10:11], 0.5
	;; [unrolled: 1-line block ×3, first 2 shown]
	s_waitcnt vmcnt(0)
	v_mul_f64 v[8:9], v[6:7], v[15:16]
	v_fma_f64 v[10:11], v[4:5], v[15:16], v[2:3]
	v_fma_f64 v[2:3], v[4:5], v[15:16], -v[2:3]
	v_fma_f64 v[17:18], v[0:1], 0.5, v[8:9]
	v_fma_f64 v[0:1], v[0:1], 0.5, -v[8:9]
	v_fma_f64 v[10:11], -v[13:14], v[6:7], v[10:11]
	v_fma_f64 v[2:3], -v[13:14], v[6:7], v[2:3]
	v_fma_f64 v[8:9], v[4:5], v[13:14], v[17:18]
	v_fma_f64 v[0:1], -v[4:5], v[13:14], v[0:1]
                                        ; implicit-def: $vgpr4_vgpr5
.LBB0_21:
	s_andn2_saveexec_b32 s0, s5
	s_cbranch_execz .LBB0_23
; %bb.22:
	v_mov_b32_e32 v15, 0
	s_waitcnt lgkmcnt(0)
	v_add_f64 v[8:9], v[4:5], v[6:7]
	v_add_f64 v[0:1], v[4:5], -v[6:7]
	v_mov_b32_e32 v10, 0
	v_mov_b32_e32 v11, 0
	ds_read_b64 v[13:14], v15 offset:12488
	v_mov_b32_e32 v2, v10
	v_mov_b32_e32 v3, v11
	s_waitcnt lgkmcnt(0)
	v_xor_b32_e32 v14, 0x80000000, v14
	ds_write_b64 v15, v[13:14] offset:12488
.LBB0_23:
	s_or_b32 exec_lo, exec_lo, s0
	v_mov_b32_e32 v49, 0
	ds_write2_b64 v162, v[8:9], v[10:11] offset1:1
	ds_write_b128 v12, v[0:3] offset:24960
	s_waitcnt lgkmcnt(2)
	v_lshlrev_b64 v[4:5], 4, v[48:49]
	v_mov_b32_e32 v53, v49
	v_lshlrev_b64 v[13:14], 4, v[52:53]
	v_add_co_u32 v4, s0, s1, v4
	v_add_co_ci_u32_e64 v5, s0, s4, v5, s0
	v_mov_b32_e32 v52, v49
	v_add_co_u32 v13, s0, s1, v13
	global_load_dwordx4 v[4:7], v[4:5], off
	v_add_co_ci_u32_e64 v14, s0, s4, v14, s0
	v_lshlrev_b64 v[17:18], 4, v[51:52]
	v_mov_b32_e32 v51, v49
	global_load_dwordx4 v[13:16], v[13:14], off
	ds_read_b128 v[0:3], v162 offset:2496
	ds_read_b128 v[8:11], v12 offset:22464
	v_add_co_u32 v17, s0, s1, v17
	v_add_co_ci_u32_e64 v18, s0, s4, v18, s0
	global_load_dwordx4 v[17:20], v[17:18], off
	s_waitcnt lgkmcnt(0)
	v_add_f64 v[21:22], v[0:1], -v[8:9]
	v_add_f64 v[23:24], v[2:3], v[10:11]
	v_add_f64 v[2:3], v[2:3], -v[10:11]
	v_add_f64 v[0:1], v[0:1], v[8:9]
	v_mul_f64 v[10:11], v[21:22], 0.5
	v_mul_f64 v[21:22], v[23:24], 0.5
	;; [unrolled: 1-line block ×3, first 2 shown]
	s_waitcnt vmcnt(2)
	v_mul_f64 v[8:9], v[10:11], v[6:7]
	v_fma_f64 v[23:24], v[21:22], v[6:7], v[2:3]
	v_fma_f64 v[2:3], v[21:22], v[6:7], -v[2:3]
	v_fma_f64 v[6:7], v[0:1], 0.5, v[8:9]
	v_fma_f64 v[0:1], v[0:1], 0.5, -v[8:9]
	v_fma_f64 v[8:9], -v[4:5], v[10:11], v[23:24]
	v_fma_f64 v[2:3], -v[4:5], v[10:11], v[2:3]
	v_lshlrev_b64 v[10:11], 4, v[50:51]
	v_fma_f64 v[6:7], v[21:22], v[4:5], v[6:7]
	v_fma_f64 v[0:1], -v[21:22], v[4:5], v[0:1]
	v_add_nc_u32_e32 v4, 0x800, v162
	ds_write2_b64 v4, v[6:7], v[8:9] offset0:56 offset1:57
	ds_write_b128 v12, v[0:3] offset:22464
	v_add_co_u32 v8, s0, s1, v10
	ds_read_b128 v[0:3], v162 offset:4992
	ds_read_b128 v[4:7], v12 offset:19968
	v_add_co_ci_u32_e64 v9, s0, s4, v11, s0
	global_load_dwordx4 v[8:11], v[8:9], off
	s_waitcnt lgkmcnt(0)
	v_add_f64 v[21:22], v[0:1], -v[4:5]
	v_add_f64 v[23:24], v[2:3], v[6:7]
	v_add_f64 v[2:3], v[2:3], -v[6:7]
	v_add_f64 v[0:1], v[0:1], v[4:5]
	v_mul_f64 v[6:7], v[21:22], 0.5
	v_mul_f64 v[21:22], v[23:24], 0.5
	;; [unrolled: 1-line block ×3, first 2 shown]
	s_waitcnt vmcnt(2)
	v_mul_f64 v[4:5], v[6:7], v[15:16]
	v_fma_f64 v[23:24], v[21:22], v[15:16], v[2:3]
	v_fma_f64 v[2:3], v[21:22], v[15:16], -v[2:3]
	v_fma_f64 v[15:16], v[0:1], 0.5, v[4:5]
	v_fma_f64 v[0:1], v[0:1], 0.5, -v[4:5]
	v_fma_f64 v[4:5], -v[13:14], v[6:7], v[23:24]
	v_fma_f64 v[2:3], -v[13:14], v[6:7], v[2:3]
	v_fma_f64 v[6:7], v[21:22], v[13:14], v[15:16]
	v_fma_f64 v[0:1], -v[21:22], v[13:14], v[0:1]
	v_add_nc_u32_e32 v13, 0x1000, v162
	ds_write2_b64 v13, v[6:7], v[4:5] offset0:112 offset1:113
	ds_write_b128 v12, v[0:3] offset:19968
	ds_read_b128 v[0:3], v162 offset:7488
	ds_read_b128 v[4:7], v12 offset:17472
	s_waitcnt lgkmcnt(0)
	v_add_f64 v[13:14], v[0:1], -v[4:5]
	v_add_f64 v[15:16], v[2:3], v[6:7]
	v_add_f64 v[2:3], v[2:3], -v[6:7]
	v_add_f64 v[0:1], v[0:1], v[4:5]
	v_mul_f64 v[6:7], v[13:14], 0.5
	v_mul_f64 v[13:14], v[15:16], 0.5
	;; [unrolled: 1-line block ×3, first 2 shown]
	s_waitcnt vmcnt(1)
	v_mul_f64 v[4:5], v[6:7], v[19:20]
	v_fma_f64 v[15:16], v[13:14], v[19:20], v[2:3]
	v_fma_f64 v[2:3], v[13:14], v[19:20], -v[2:3]
	v_fma_f64 v[19:20], v[0:1], 0.5, v[4:5]
	v_fma_f64 v[0:1], v[0:1], 0.5, -v[4:5]
	v_fma_f64 v[4:5], -v[17:18], v[6:7], v[15:16]
	v_fma_f64 v[2:3], -v[17:18], v[6:7], v[2:3]
	v_fma_f64 v[6:7], v[13:14], v[17:18], v[19:20]
	v_fma_f64 v[0:1], -v[13:14], v[17:18], v[0:1]
	v_add_nc_u32_e32 v13, 0x1800, v162
	ds_write2_b64 v13, v[6:7], v[4:5] offset0:168 offset1:169
	ds_write_b128 v12, v[0:3] offset:17472
	ds_read_b128 v[0:3], v162 offset:9984
	ds_read_b128 v[4:7], v12 offset:14976
	s_waitcnt lgkmcnt(0)
	v_add_f64 v[13:14], v[0:1], -v[4:5]
	v_add_f64 v[15:16], v[2:3], v[6:7]
	v_add_f64 v[2:3], v[2:3], -v[6:7]
	v_add_f64 v[0:1], v[0:1], v[4:5]
	v_mul_f64 v[6:7], v[13:14], 0.5
	v_mul_f64 v[13:14], v[15:16], 0.5
	;; [unrolled: 1-line block ×3, first 2 shown]
	s_waitcnt vmcnt(0)
	v_mul_f64 v[4:5], v[6:7], v[10:11]
	v_fma_f64 v[15:16], v[13:14], v[10:11], v[2:3]
	v_fma_f64 v[2:3], v[13:14], v[10:11], -v[2:3]
	v_fma_f64 v[10:11], v[0:1], 0.5, v[4:5]
	v_fma_f64 v[0:1], v[0:1], 0.5, -v[4:5]
	v_fma_f64 v[4:5], -v[8:9], v[6:7], v[15:16]
	v_fma_f64 v[2:3], -v[8:9], v[6:7], v[2:3]
	v_fma_f64 v[6:7], v[13:14], v[8:9], v[10:11]
	v_fma_f64 v[0:1], -v[13:14], v[8:9], v[0:1]
	v_add_nc_u32_e32 v8, 0x2000, v162
	ds_write2_b64 v8, v[6:7], v[4:5] offset0:224 offset1:225
	ds_write_b128 v12, v[0:3] offset:14976
	s_waitcnt lgkmcnt(0)
	s_barrier
	buffer_gl0_inv
	s_and_saveexec_b32 s0, vcc_lo
	s_cbranch_execz .LBB0_26
; %bb.24:
	v_mul_lo_u32 v2, s3, v64
	v_mul_lo_u32 v3, s2, v65
	v_mad_u64_u32 v[0:1], null, s2, v64, 0
	v_lshl_add_u32 v26, v62, 4, 0
	v_mov_b32_e32 v63, v49
	v_lshlrev_b64 v[10:11], 4, v[60:61]
	v_add_nc_u32_e32 v48, 0x9c, v62
	v_add3_u32 v1, v1, v3, v2
	ds_read_b128 v[2:5], v26
	ds_read_b128 v[6:9], v26 offset:2496
	v_lshlrev_b64 v[12:13], 4, v[62:63]
	v_lshlrev_b64 v[14:15], 4, v[48:49]
	v_add_nc_u32_e32 v48, 0x138, v62
	v_lshlrev_b64 v[0:1], 4, v[0:1]
	v_add_co_u32 v0, vcc_lo, s10, v0
	v_add_co_ci_u32_e32 v1, vcc_lo, s11, v1, vcc_lo
	v_add_co_u32 v0, vcc_lo, v0, v10
	v_add_co_ci_u32_e32 v1, vcc_lo, v1, v11, vcc_lo
	;; [unrolled: 2-line block ×4, first 2 shown]
	v_lshlrev_b64 v[14:15], 4, v[48:49]
	v_add_nc_u32_e32 v48, 0x1d4, v62
	s_waitcnt lgkmcnt(1)
	global_store_dwordx4 v[10:11], v[2:5], off
	s_waitcnt lgkmcnt(0)
	global_store_dwordx4 v[12:13], v[6:9], off
	ds_read_b128 v[2:5], v26 offset:4992
	ds_read_b128 v[6:9], v26 offset:7488
	v_lshlrev_b64 v[18:19], 4, v[48:49]
	v_add_nc_u32_e32 v48, 0x270, v62
	v_add_co_u32 v20, vcc_lo, v0, v14
	v_add_co_ci_u32_e32 v21, vcc_lo, v1, v15, vcc_lo
	ds_read_b128 v[10:13], v26 offset:9984
	ds_read_b128 v[14:17], v26 offset:12480
	v_lshlrev_b64 v[22:23], 4, v[48:49]
	v_add_nc_u32_e32 v48, 0x30c, v62
	v_add_co_u32 v18, vcc_lo, v0, v18
	v_add_co_ci_u32_e32 v19, vcc_lo, v1, v19, vcc_lo
	v_lshlrev_b64 v[24:25], 4, v[48:49]
	v_add_nc_u32_e32 v48, 0x3a8, v62
	v_add_co_u32 v22, vcc_lo, v0, v22
	s_waitcnt lgkmcnt(3)
	global_store_dwordx4 v[20:21], v[2:5], off
	v_add_co_ci_u32_e32 v23, vcc_lo, v1, v23, vcc_lo
	v_lshlrev_b64 v[2:3], 4, v[48:49]
	v_add_nc_u32_e32 v48, 0x444, v62
	v_add_co_u32 v24, vcc_lo, v0, v24
	v_add_co_ci_u32_e32 v25, vcc_lo, v1, v25, vcc_lo
	v_lshlrev_b64 v[20:21], 4, v[48:49]
	v_add_nc_u32_e32 v48, 0x4e0, v62
	s_waitcnt lgkmcnt(2)
	global_store_dwordx4 v[18:19], v[6:9], off
	s_waitcnt lgkmcnt(1)
	global_store_dwordx4 v[22:23], v[10:13], off
	;; [unrolled: 2-line block ×3, first 2 shown]
	v_add_co_u32 v18, vcc_lo, v0, v2
	v_add_co_ci_u32_e32 v19, vcc_lo, v1, v3, vcc_lo
	ds_read_b128 v[2:5], v26 offset:14976
	ds_read_b128 v[6:9], v26 offset:17472
	;; [unrolled: 1-line block ×4, first 2 shown]
	v_lshlrev_b64 v[22:23], 4, v[48:49]
	v_add_nc_u32_e32 v48, 0x57c, v62
	v_add_co_u32 v20, vcc_lo, v0, v20
	v_add_co_ci_u32_e32 v21, vcc_lo, v1, v21, vcc_lo
	v_lshlrev_b64 v[24:25], 4, v[48:49]
	v_add_co_u32 v22, vcc_lo, v0, v22
	v_add_co_ci_u32_e32 v23, vcc_lo, v1, v23, vcc_lo
	v_add_co_u32 v24, vcc_lo, v0, v24
	v_add_co_ci_u32_e32 v25, vcc_lo, v1, v25, vcc_lo
	v_cmp_eq_u32_e32 vcc_lo, 0x9b, v62
	s_waitcnt lgkmcnt(3)
	global_store_dwordx4 v[18:19], v[2:5], off
	s_waitcnt lgkmcnt(2)
	global_store_dwordx4 v[20:21], v[6:9], off
	;; [unrolled: 2-line block ×4, first 2 shown]
	s_and_b32 exec_lo, exec_lo, vcc_lo
	s_cbranch_execz .LBB0_26
; %bb.25:
	v_mov_b32_e32 v2, 0
	v_add_co_u32 v0, vcc_lo, 0x6000, v0
	v_add_co_ci_u32_e32 v1, vcc_lo, 0, v1, vcc_lo
	ds_read_b128 v[2:5], v2 offset:24960
	s_waitcnt lgkmcnt(0)
	global_store_dwordx4 v[0:1], v[2:5], off offset:384
.LBB0_26:
	s_endpgm
	.section	.rodata,"a",@progbits
	.p2align	6, 0x0
	.amdhsa_kernel fft_rtc_back_len1560_factors_13_2_2_10_3_wgs_156_tpt_156_dp_op_CI_CI_unitstride_sbrr_R2C_dirReg
		.amdhsa_group_segment_fixed_size 0
		.amdhsa_private_segment_fixed_size 0
		.amdhsa_kernarg_size 104
		.amdhsa_user_sgpr_count 6
		.amdhsa_user_sgpr_private_segment_buffer 1
		.amdhsa_user_sgpr_dispatch_ptr 0
		.amdhsa_user_sgpr_queue_ptr 0
		.amdhsa_user_sgpr_kernarg_segment_ptr 1
		.amdhsa_user_sgpr_dispatch_id 0
		.amdhsa_user_sgpr_flat_scratch_init 0
		.amdhsa_user_sgpr_private_segment_size 0
		.amdhsa_wavefront_size32 1
		.amdhsa_uses_dynamic_stack 0
		.amdhsa_system_sgpr_private_segment_wavefront_offset 0
		.amdhsa_system_sgpr_workgroup_id_x 1
		.amdhsa_system_sgpr_workgroup_id_y 0
		.amdhsa_system_sgpr_workgroup_id_z 0
		.amdhsa_system_sgpr_workgroup_info 0
		.amdhsa_system_vgpr_workitem_id 0
		.amdhsa_next_free_vgpr 193
		.amdhsa_next_free_sgpr 40
		.amdhsa_reserve_vcc 1
		.amdhsa_reserve_flat_scratch 0
		.amdhsa_float_round_mode_32 0
		.amdhsa_float_round_mode_16_64 0
		.amdhsa_float_denorm_mode_32 3
		.amdhsa_float_denorm_mode_16_64 3
		.amdhsa_dx10_clamp 1
		.amdhsa_ieee_mode 1
		.amdhsa_fp16_overflow 0
		.amdhsa_workgroup_processor_mode 1
		.amdhsa_memory_ordered 1
		.amdhsa_forward_progress 0
		.amdhsa_shared_vgpr_count 0
		.amdhsa_exception_fp_ieee_invalid_op 0
		.amdhsa_exception_fp_denorm_src 0
		.amdhsa_exception_fp_ieee_div_zero 0
		.amdhsa_exception_fp_ieee_overflow 0
		.amdhsa_exception_fp_ieee_underflow 0
		.amdhsa_exception_fp_ieee_inexact 0
		.amdhsa_exception_int_div_zero 0
	.end_amdhsa_kernel
	.text
.Lfunc_end0:
	.size	fft_rtc_back_len1560_factors_13_2_2_10_3_wgs_156_tpt_156_dp_op_CI_CI_unitstride_sbrr_R2C_dirReg, .Lfunc_end0-fft_rtc_back_len1560_factors_13_2_2_10_3_wgs_156_tpt_156_dp_op_CI_CI_unitstride_sbrr_R2C_dirReg
                                        ; -- End function
	.section	.AMDGPU.csdata,"",@progbits
; Kernel info:
; codeLenInByte = 12520
; NumSgprs: 42
; NumVgprs: 193
; ScratchSize: 0
; MemoryBound: 0
; FloatMode: 240
; IeeeMode: 1
; LDSByteSize: 0 bytes/workgroup (compile time only)
; SGPRBlocks: 5
; VGPRBlocks: 24
; NumSGPRsForWavesPerEU: 42
; NumVGPRsForWavesPerEU: 193
; Occupancy: 4
; WaveLimiterHint : 1
; COMPUTE_PGM_RSRC2:SCRATCH_EN: 0
; COMPUTE_PGM_RSRC2:USER_SGPR: 6
; COMPUTE_PGM_RSRC2:TRAP_HANDLER: 0
; COMPUTE_PGM_RSRC2:TGID_X_EN: 1
; COMPUTE_PGM_RSRC2:TGID_Y_EN: 0
; COMPUTE_PGM_RSRC2:TGID_Z_EN: 0
; COMPUTE_PGM_RSRC2:TIDIG_COMP_CNT: 0
	.text
	.p2alignl 6, 3214868480
	.fill 48, 4, 3214868480
	.type	__hip_cuid_3618d88326bcf111,@object ; @__hip_cuid_3618d88326bcf111
	.section	.bss,"aw",@nobits
	.globl	__hip_cuid_3618d88326bcf111
__hip_cuid_3618d88326bcf111:
	.byte	0                               ; 0x0
	.size	__hip_cuid_3618d88326bcf111, 1

	.ident	"AMD clang version 19.0.0git (https://github.com/RadeonOpenCompute/llvm-project roc-6.4.0 25133 c7fe45cf4b819c5991fe208aaa96edf142730f1d)"
	.section	".note.GNU-stack","",@progbits
	.addrsig
	.addrsig_sym __hip_cuid_3618d88326bcf111
	.amdgpu_metadata
---
amdhsa.kernels:
  - .args:
      - .actual_access:  read_only
        .address_space:  global
        .offset:         0
        .size:           8
        .value_kind:     global_buffer
      - .offset:         8
        .size:           8
        .value_kind:     by_value
      - .actual_access:  read_only
        .address_space:  global
        .offset:         16
        .size:           8
        .value_kind:     global_buffer
      - .actual_access:  read_only
        .address_space:  global
        .offset:         24
        .size:           8
        .value_kind:     global_buffer
      - .actual_access:  read_only
        .address_space:  global
        .offset:         32
        .size:           8
        .value_kind:     global_buffer
      - .offset:         40
        .size:           8
        .value_kind:     by_value
      - .actual_access:  read_only
        .address_space:  global
        .offset:         48
        .size:           8
        .value_kind:     global_buffer
      - .actual_access:  read_only
        .address_space:  global
        .offset:         56
        .size:           8
        .value_kind:     global_buffer
      - .offset:         64
        .size:           4
        .value_kind:     by_value
      - .actual_access:  read_only
        .address_space:  global
        .offset:         72
        .size:           8
        .value_kind:     global_buffer
      - .actual_access:  read_only
        .address_space:  global
        .offset:         80
        .size:           8
        .value_kind:     global_buffer
      - .actual_access:  read_only
        .address_space:  global
        .offset:         88
        .size:           8
        .value_kind:     global_buffer
      - .actual_access:  write_only
        .address_space:  global
        .offset:         96
        .size:           8
        .value_kind:     global_buffer
    .group_segment_fixed_size: 0
    .kernarg_segment_align: 8
    .kernarg_segment_size: 104
    .language:       OpenCL C
    .language_version:
      - 2
      - 0
    .max_flat_workgroup_size: 156
    .name:           fft_rtc_back_len1560_factors_13_2_2_10_3_wgs_156_tpt_156_dp_op_CI_CI_unitstride_sbrr_R2C_dirReg
    .private_segment_fixed_size: 0
    .sgpr_count:     42
    .sgpr_spill_count: 0
    .symbol:         fft_rtc_back_len1560_factors_13_2_2_10_3_wgs_156_tpt_156_dp_op_CI_CI_unitstride_sbrr_R2C_dirReg.kd
    .uniform_work_group_size: 1
    .uses_dynamic_stack: false
    .vgpr_count:     193
    .vgpr_spill_count: 0
    .wavefront_size: 32
    .workgroup_processor_mode: 1
amdhsa.target:   amdgcn-amd-amdhsa--gfx1030
amdhsa.version:
  - 1
  - 2
...

	.end_amdgpu_metadata
